;; amdgpu-corpus repo=ROCm/rocFFT kind=compiled arch=gfx1201 opt=O3
	.text
	.amdgcn_target "amdgcn-amd-amdhsa--gfx1201"
	.amdhsa_code_object_version 6
	.protected	fft_rtc_back_len595_factors_7_17_5_wgs_51_tpt_17_halfLds_dp_op_CI_CI_sbrr_dirReg ; -- Begin function fft_rtc_back_len595_factors_7_17_5_wgs_51_tpt_17_halfLds_dp_op_CI_CI_sbrr_dirReg
	.globl	fft_rtc_back_len595_factors_7_17_5_wgs_51_tpt_17_halfLds_dp_op_CI_CI_sbrr_dirReg
	.p2align	8
	.type	fft_rtc_back_len595_factors_7_17_5_wgs_51_tpt_17_halfLds_dp_op_CI_CI_sbrr_dirReg,@function
fft_rtc_back_len595_factors_7_17_5_wgs_51_tpt_17_halfLds_dp_op_CI_CI_sbrr_dirReg: ; @fft_rtc_back_len595_factors_7_17_5_wgs_51_tpt_17_halfLds_dp_op_CI_CI_sbrr_dirReg
; %bb.0:
	s_clause 0x1
	s_load_b128 s[12:15], s[0:1], 0x18
	s_load_b128 s[8:11], s[0:1], 0x0
	v_mul_u32_u24_e32 v1, 0xf10, v0
	v_mov_b32_e32 v6, 0
	s_load_b128 s[4:7], s[0:1], 0x58
	s_wait_kmcnt 0x0
	s_load_b64 s[18:19], s[12:13], 0x0
	s_load_b64 s[16:17], s[14:15], 0x0
	v_lshrrev_b32_e32 v2, 16, v1
	v_mov_b32_e32 v1, 0
	v_cmp_lt_u64_e64 s2, s[10:11], 2
	s_delay_alu instid0(VALU_DEP_3) | instskip(NEXT) | instid1(VALU_DEP_3)
	v_mad_co_u64_u32 v[4:5], null, ttmp9, 3, v[2:3]
	v_mov_b32_e32 v5, v1
	v_mov_b32_e32 v7, 0
	s_delay_alu instid0(VALU_DEP_4) | instskip(NEXT) | instid1(VALU_DEP_2)
	s_and_b32 vcc_lo, exec_lo, s2
	v_dual_mov_b32 v233, v5 :: v_dual_mov_b32 v232, v4
	s_delay_alu instid0(VALU_DEP_2)
	v_dual_mov_b32 v231, v7 :: v_dual_mov_b32 v230, v6
	s_cbranch_vccnz .LBB0_8
; %bb.1:
	s_load_b64 s[2:3], s[0:1], 0x10
	v_dual_mov_b32 v6, 0 :: v_dual_mov_b32 v9, v5
	v_dual_mov_b32 v7, 0 :: v_dual_mov_b32 v8, v4
	s_add_nc_u64 s[20:21], s[14:15], 8
	s_add_nc_u64 s[22:23], s[12:13], 8
	s_mov_b64 s[24:25], 1
	s_delay_alu instid0(VALU_DEP_1)
	v_dual_mov_b32 v231, v7 :: v_dual_mov_b32 v230, v6
	s_wait_kmcnt 0x0
	s_add_nc_u64 s[26:27], s[2:3], 8
	s_mov_b32 s3, 0
.LBB0_2:                                ; =>This Inner Loop Header: Depth=1
	s_load_b64 s[28:29], s[26:27], 0x0
                                        ; implicit-def: $vgpr232_vgpr233
	s_mov_b32 s2, exec_lo
	s_wait_kmcnt 0x0
	v_or_b32_e32 v2, s29, v9
	s_delay_alu instid0(VALU_DEP_1)
	v_cmpx_ne_u64_e32 0, v[1:2]
	s_wait_alu 0xfffe
	s_xor_b32 s30, exec_lo, s2
	s_cbranch_execz .LBB0_4
; %bb.3:                                ;   in Loop: Header=BB0_2 Depth=1
	s_cvt_f32_u32 s2, s28
	s_cvt_f32_u32 s31, s29
	s_sub_nc_u64 s[36:37], 0, s[28:29]
	s_wait_alu 0xfffe
	s_delay_alu instid0(SALU_CYCLE_1) | instskip(SKIP_1) | instid1(SALU_CYCLE_2)
	s_fmamk_f32 s2, s31, 0x4f800000, s2
	s_wait_alu 0xfffe
	v_s_rcp_f32 s2, s2
	s_delay_alu instid0(TRANS32_DEP_1) | instskip(SKIP_1) | instid1(SALU_CYCLE_2)
	s_mul_f32 s2, s2, 0x5f7ffffc
	s_wait_alu 0xfffe
	s_mul_f32 s31, s2, 0x2f800000
	s_wait_alu 0xfffe
	s_delay_alu instid0(SALU_CYCLE_2) | instskip(SKIP_1) | instid1(SALU_CYCLE_2)
	s_trunc_f32 s31, s31
	s_wait_alu 0xfffe
	s_fmamk_f32 s2, s31, 0xcf800000, s2
	s_cvt_u32_f32 s35, s31
	s_wait_alu 0xfffe
	s_delay_alu instid0(SALU_CYCLE_1) | instskip(SKIP_1) | instid1(SALU_CYCLE_2)
	s_cvt_u32_f32 s34, s2
	s_wait_alu 0xfffe
	s_mul_u64 s[38:39], s[36:37], s[34:35]
	s_wait_alu 0xfffe
	s_mul_hi_u32 s41, s34, s39
	s_mul_i32 s40, s34, s39
	s_mul_hi_u32 s2, s34, s38
	s_mul_i32 s33, s35, s38
	s_wait_alu 0xfffe
	s_add_nc_u64 s[40:41], s[2:3], s[40:41]
	s_mul_hi_u32 s31, s35, s38
	s_mul_hi_u32 s42, s35, s39
	s_add_co_u32 s2, s40, s33
	s_wait_alu 0xfffe
	s_add_co_ci_u32 s2, s41, s31
	s_mul_i32 s38, s35, s39
	s_add_co_ci_u32 s39, s42, 0
	s_wait_alu 0xfffe
	s_add_nc_u64 s[38:39], s[2:3], s[38:39]
	s_wait_alu 0xfffe
	v_add_co_u32 v2, s2, s34, s38
	s_delay_alu instid0(VALU_DEP_1) | instskip(SKIP_1) | instid1(VALU_DEP_1)
	s_cmp_lg_u32 s2, 0
	s_add_co_ci_u32 s35, s35, s39
	v_readfirstlane_b32 s34, v2
	s_wait_alu 0xfffe
	s_delay_alu instid0(VALU_DEP_1)
	s_mul_u64 s[36:37], s[36:37], s[34:35]
	s_wait_alu 0xfffe
	s_mul_hi_u32 s39, s34, s37
	s_mul_i32 s38, s34, s37
	s_mul_hi_u32 s2, s34, s36
	s_mul_i32 s33, s35, s36
	s_wait_alu 0xfffe
	s_add_nc_u64 s[38:39], s[2:3], s[38:39]
	s_mul_hi_u32 s31, s35, s36
	s_mul_hi_u32 s34, s35, s37
	s_wait_alu 0xfffe
	s_add_co_u32 s2, s38, s33
	s_add_co_ci_u32 s2, s39, s31
	s_mul_i32 s36, s35, s37
	s_add_co_ci_u32 s37, s34, 0
	s_wait_alu 0xfffe
	s_add_nc_u64 s[36:37], s[2:3], s[36:37]
	s_wait_alu 0xfffe
	v_add_co_u32 v5, s2, v2, s36
	s_delay_alu instid0(VALU_DEP_1) | instskip(SKIP_1) | instid1(VALU_DEP_1)
	s_cmp_lg_u32 s2, 0
	s_add_co_ci_u32 s2, s35, s37
	v_mul_hi_u32 v14, v8, v5
	s_wait_alu 0xfffe
	v_mad_co_u64_u32 v[2:3], null, v8, s2, 0
	v_mad_co_u64_u32 v[10:11], null, v9, v5, 0
	;; [unrolled: 1-line block ×3, first 2 shown]
	s_delay_alu instid0(VALU_DEP_3) | instskip(SKIP_1) | instid1(VALU_DEP_4)
	v_add_co_u32 v2, vcc_lo, v14, v2
	s_wait_alu 0xfffd
	v_add_co_ci_u32_e32 v3, vcc_lo, 0, v3, vcc_lo
	s_delay_alu instid0(VALU_DEP_2) | instskip(SKIP_1) | instid1(VALU_DEP_2)
	v_add_co_u32 v2, vcc_lo, v2, v10
	s_wait_alu 0xfffd
	v_add_co_ci_u32_e32 v2, vcc_lo, v3, v11, vcc_lo
	s_wait_alu 0xfffd
	v_add_co_ci_u32_e32 v3, vcc_lo, 0, v13, vcc_lo
	s_delay_alu instid0(VALU_DEP_2) | instskip(SKIP_1) | instid1(VALU_DEP_2)
	v_add_co_u32 v5, vcc_lo, v2, v12
	s_wait_alu 0xfffd
	v_add_co_ci_u32_e32 v10, vcc_lo, 0, v3, vcc_lo
	s_delay_alu instid0(VALU_DEP_2) | instskip(SKIP_1) | instid1(VALU_DEP_3)
	v_mul_lo_u32 v11, s29, v5
	v_mad_co_u64_u32 v[2:3], null, s28, v5, 0
	v_mul_lo_u32 v12, s28, v10
	s_delay_alu instid0(VALU_DEP_2) | instskip(NEXT) | instid1(VALU_DEP_2)
	v_sub_co_u32 v2, vcc_lo, v8, v2
	v_add3_u32 v3, v3, v12, v11
	s_delay_alu instid0(VALU_DEP_1) | instskip(SKIP_1) | instid1(VALU_DEP_1)
	v_sub_nc_u32_e32 v11, v9, v3
	s_wait_alu 0xfffd
	v_subrev_co_ci_u32_e64 v11, s2, s29, v11, vcc_lo
	v_add_co_u32 v12, s2, v5, 2
	s_wait_alu 0xf1ff
	v_add_co_ci_u32_e64 v13, s2, 0, v10, s2
	v_sub_co_u32 v14, s2, v2, s28
	v_sub_co_ci_u32_e32 v3, vcc_lo, v9, v3, vcc_lo
	s_wait_alu 0xf1ff
	v_subrev_co_ci_u32_e64 v11, s2, 0, v11, s2
	s_delay_alu instid0(VALU_DEP_3) | instskip(NEXT) | instid1(VALU_DEP_3)
	v_cmp_le_u32_e32 vcc_lo, s28, v14
	v_cmp_eq_u32_e64 s2, s29, v3
	s_wait_alu 0xfffd
	v_cndmask_b32_e64 v14, 0, -1, vcc_lo
	v_cmp_le_u32_e32 vcc_lo, s29, v11
	s_wait_alu 0xfffd
	v_cndmask_b32_e64 v15, 0, -1, vcc_lo
	v_cmp_le_u32_e32 vcc_lo, s28, v2
	;; [unrolled: 3-line block ×3, first 2 shown]
	s_wait_alu 0xfffd
	v_cndmask_b32_e64 v16, 0, -1, vcc_lo
	v_cmp_eq_u32_e32 vcc_lo, s29, v11
	s_wait_alu 0xf1ff
	s_delay_alu instid0(VALU_DEP_2)
	v_cndmask_b32_e64 v2, v16, v2, s2
	s_wait_alu 0xfffd
	v_cndmask_b32_e32 v11, v15, v14, vcc_lo
	v_add_co_u32 v14, vcc_lo, v5, 1
	s_wait_alu 0xfffd
	v_add_co_ci_u32_e32 v15, vcc_lo, 0, v10, vcc_lo
	s_delay_alu instid0(VALU_DEP_3) | instskip(SKIP_2) | instid1(VALU_DEP_3)
	v_cmp_ne_u32_e32 vcc_lo, 0, v11
	s_wait_alu 0xfffd
	v_cndmask_b32_e32 v11, v14, v12, vcc_lo
	v_cndmask_b32_e32 v3, v15, v13, vcc_lo
	v_cmp_ne_u32_e32 vcc_lo, 0, v2
	s_wait_alu 0xfffd
	s_delay_alu instid0(VALU_DEP_3) | instskip(NEXT) | instid1(VALU_DEP_3)
	v_cndmask_b32_e32 v232, v5, v11, vcc_lo
	v_cndmask_b32_e32 v233, v10, v3, vcc_lo
.LBB0_4:                                ;   in Loop: Header=BB0_2 Depth=1
	s_wait_alu 0xfffe
	s_and_not1_saveexec_b32 s2, s30
	s_cbranch_execz .LBB0_6
; %bb.5:                                ;   in Loop: Header=BB0_2 Depth=1
	v_cvt_f32_u32_e32 v2, s28
	s_sub_co_i32 s30, 0, s28
	v_mov_b32_e32 v233, v1
	s_delay_alu instid0(VALU_DEP_2) | instskip(NEXT) | instid1(TRANS32_DEP_1)
	v_rcp_iflag_f32_e32 v2, v2
	v_mul_f32_e32 v2, 0x4f7ffffe, v2
	s_delay_alu instid0(VALU_DEP_1) | instskip(SKIP_1) | instid1(VALU_DEP_1)
	v_cvt_u32_f32_e32 v2, v2
	s_wait_alu 0xfffe
	v_mul_lo_u32 v3, s30, v2
	s_delay_alu instid0(VALU_DEP_1) | instskip(NEXT) | instid1(VALU_DEP_1)
	v_mul_hi_u32 v3, v2, v3
	v_add_nc_u32_e32 v2, v2, v3
	s_delay_alu instid0(VALU_DEP_1) | instskip(NEXT) | instid1(VALU_DEP_1)
	v_mul_hi_u32 v2, v8, v2
	v_mul_lo_u32 v3, v2, s28
	v_add_nc_u32_e32 v5, 1, v2
	s_delay_alu instid0(VALU_DEP_2) | instskip(NEXT) | instid1(VALU_DEP_1)
	v_sub_nc_u32_e32 v3, v8, v3
	v_subrev_nc_u32_e32 v10, s28, v3
	v_cmp_le_u32_e32 vcc_lo, s28, v3
	s_wait_alu 0xfffd
	s_delay_alu instid0(VALU_DEP_2) | instskip(NEXT) | instid1(VALU_DEP_1)
	v_dual_cndmask_b32 v3, v3, v10 :: v_dual_cndmask_b32 v2, v2, v5
	v_cmp_le_u32_e32 vcc_lo, s28, v3
	s_delay_alu instid0(VALU_DEP_2) | instskip(SKIP_1) | instid1(VALU_DEP_1)
	v_add_nc_u32_e32 v5, 1, v2
	s_wait_alu 0xfffd
	v_cndmask_b32_e32 v232, v2, v5, vcc_lo
.LBB0_6:                                ;   in Loop: Header=BB0_2 Depth=1
	s_wait_alu 0xfffe
	s_or_b32 exec_lo, exec_lo, s2
	v_mul_lo_u32 v5, v233, s28
	s_delay_alu instid0(VALU_DEP_2)
	v_mul_lo_u32 v10, v232, s29
	s_load_b64 s[30:31], s[22:23], 0x0
	v_mad_co_u64_u32 v[2:3], null, v232, s28, 0
	s_load_b64 s[28:29], s[20:21], 0x0
	s_add_nc_u64 s[24:25], s[24:25], 1
	s_add_nc_u64 s[20:21], s[20:21], 8
	s_wait_alu 0xfffe
	v_cmp_ge_u64_e64 s2, s[24:25], s[10:11]
	s_add_nc_u64 s[22:23], s[22:23], 8
	s_add_nc_u64 s[26:27], s[26:27], 8
	v_add3_u32 v3, v3, v10, v5
	v_sub_co_u32 v2, vcc_lo, v8, v2
	s_wait_alu 0xfffd
	s_delay_alu instid0(VALU_DEP_2) | instskip(SKIP_2) | instid1(VALU_DEP_1)
	v_sub_co_ci_u32_e32 v3, vcc_lo, v9, v3, vcc_lo
	s_and_b32 vcc_lo, exec_lo, s2
	s_wait_kmcnt 0x0
	v_mul_lo_u32 v5, s30, v3
	v_mul_lo_u32 v8, s31, v2
	v_mad_co_u64_u32 v[6:7], null, s30, v2, v[6:7]
	v_mul_lo_u32 v3, s28, v3
	v_mul_lo_u32 v9, s29, v2
	v_mad_co_u64_u32 v[230:231], null, s28, v2, v[230:231]
	s_delay_alu instid0(VALU_DEP_4) | instskip(NEXT) | instid1(VALU_DEP_2)
	v_add3_u32 v7, v8, v7, v5
	v_add3_u32 v231, v9, v231, v3
	s_wait_alu 0xfffe
	s_cbranch_vccnz .LBB0_8
; %bb.7:                                ;   in Loop: Header=BB0_2 Depth=1
	v_dual_mov_b32 v8, v232 :: v_dual_mov_b32 v9, v233
	s_branch .LBB0_2
.LBB0_8:
	s_load_b64 s[0:1], s[0:1], 0x28
	v_mul_hi_u32 v1, 0xf0f0f10, v0
	s_lshl_b64 s[10:11], s[10:11], 3
                                        ; implicit-def: $vgpr2
                                        ; implicit-def: $vgpr234
                                        ; implicit-def: $vgpr235
                                        ; implicit-def: $vgpr238
                                        ; kill: killed $vgpr2
                                        ; implicit-def: $vgpr2
                                        ; kill: killed $vgpr2
	s_wait_kmcnt 0x0
	v_cmp_gt_u64_e32 vcc_lo, s[0:1], v[232:233]
	v_cmp_le_u64_e64 s0, s[0:1], v[232:233]
	s_delay_alu instid0(VALU_DEP_1)
	s_and_saveexec_b32 s1, s0
	s_wait_alu 0xfffe
	s_xor_b32 s0, exec_lo, s1
	s_cbranch_execz .LBB0_10
; %bb.9:
	v_mul_u32_u24_e32 v1, 17, v1
                                        ; implicit-def: $vgpr6_vgpr7
	s_delay_alu instid0(VALU_DEP_1) | instskip(NEXT) | instid1(VALU_DEP_1)
	v_sub_nc_u32_e32 v234, v0, v1
                                        ; implicit-def: $vgpr1
	v_add_nc_u32_e32 v0, 51, v234
	v_add_nc_u32_e32 v235, 17, v234
	;; [unrolled: 1-line block ×3, first 2 shown]
	scratch_store_b32 off, v0, off          ; 4-byte Folded Spill
	v_add_nc_u32_e32 v0, 0x44, v234
	scratch_store_b32 off, v0, off offset:8 ; 4-byte Folded Spill
                                        ; implicit-def: $vgpr0
.LBB0_10:
	s_wait_alu 0xfffe
	s_or_saveexec_b32 s1, s0
	s_add_nc_u64 s[2:3], s[14:15], s[10:11]
                                        ; implicit-def: $vgpr96_vgpr97
                                        ; implicit-def: $vgpr104_vgpr105
                                        ; implicit-def: $vgpr92_vgpr93
                                        ; implicit-def: $vgpr88_vgpr89
                                        ; implicit-def: $vgpr100_vgpr101
                                        ; implicit-def: $vgpr84_vgpr85
                                        ; implicit-def: $vgpr2_vgpr3
                                        ; implicit-def: $vgpr116_vgpr117
                                        ; implicit-def: $vgpr136_vgpr137
                                        ; implicit-def: $vgpr128_vgpr129
                                        ; implicit-def: $vgpr124_vgpr125
                                        ; implicit-def: $vgpr132_vgpr133
                                        ; implicit-def: $vgpr112_vgpr113
                                        ; implicit-def: $vgpr64_vgpr65
                                        ; implicit-def: $vgpr144_vgpr145
                                        ; implicit-def: $vgpr160_vgpr161
                                        ; implicit-def: $vgpr152_vgpr153
                                        ; implicit-def: $vgpr148_vgpr149
                                        ; implicit-def: $vgpr156_vgpr157
                                        ; implicit-def: $vgpr140_vgpr141
                                        ; implicit-def: $vgpr70_vgpr71
                                        ; implicit-def: $vgpr168_vgpr169
                                        ; implicit-def: $vgpr184_vgpr185
                                        ; implicit-def: $vgpr176_vgpr177
                                        ; implicit-def: $vgpr172_vgpr173
                                        ; implicit-def: $vgpr180_vgpr181
                                        ; implicit-def: $vgpr164_vgpr165
                                        ; implicit-def: $vgpr76_vgpr77
                                        ; implicit-def: $vgpr196_vgpr197
                                        ; implicit-def: $vgpr192_vgpr193
                                        ; implicit-def: $vgpr188_vgpr189
                                        ; implicit-def: $vgpr108_vgpr109
                                        ; implicit-def: $vgpr120_vgpr121
                                        ; implicit-def: $vgpr80_vgpr81
                                        ; implicit-def: $vgpr60_vgpr61
	s_wait_alu 0xfffe
	s_xor_b32 exec_lo, exec_lo, s1
	s_cbranch_execz .LBB0_12
; %bb.11:
	s_add_nc_u64 s[10:11], s[12:13], s[10:11]
	v_mul_u32_u24_e32 v1, 17, v1
	s_load_b64 s[10:11], s[10:11], 0x0
	v_lshlrev_b64_e32 v[2:3], 4, v[6:7]
	s_delay_alu instid0(VALU_DEP_2) | instskip(NEXT) | instid1(VALU_DEP_1)
	v_sub_nc_u32_e32 v234, v0, v1
	v_add_nc_u32_e32 v14, 0x55, v234
	v_mad_co_u64_u32 v[0:1], null, s18, v234, 0
	v_add_nc_u32_e32 v17, 0xaa, v234
	v_add_nc_u32_e32 v235, 17, v234
	s_delay_alu instid0(VALU_DEP_4) | instskip(SKIP_1) | instid1(VALU_DEP_4)
	v_mad_co_u64_u32 v[5:6], null, s18, v14, 0
	v_or_b32_e32 v49, 0x220, v234
	v_mad_co_u64_u32 v[7:8], null, s18, v17, 0
	v_mad_co_u64_u32 v[11:12], null, s19, v234, v[1:2]
	s_wait_kmcnt 0x0
	v_mul_lo_u32 v15, s11, v232
	v_mul_lo_u32 v16, s10, v233
	v_mad_co_u64_u32 v[9:10], null, s10, v232, 0
	v_dual_mov_b32 v1, v6 :: v_dual_add_nc_u32 v18, 0xff, v234
	v_mov_b32_e32 v6, v8
	v_add_nc_u32_e32 v64, 0x44, v234
	v_add_nc_u32_e32 v60, 0x187, v234
	;; [unrolled: 1-line block ×3, first 2 shown]
	v_add3_u32 v10, v10, v16, v15
	v_mad_co_u64_u32 v[14:15], null, s19, v14, v[1:2]
	v_mov_b32_e32 v1, v11
	v_mad_co_u64_u32 v[12:13], null, s18, v18, 0
	s_delay_alu instid0(VALU_DEP_4) | instskip(SKIP_4) | instid1(VALU_DEP_4)
	v_lshlrev_b64_e32 v[8:9], 4, v[9:10]
	v_add_nc_u32_e32 v19, 0x154, v234
	v_mad_co_u64_u32 v[10:11], null, s19, v17, v[6:7]
	v_mov_b32_e32 v6, v14
	v_lshlrev_b64_e32 v[0:1], 4, v[0:1]
	v_mad_co_u64_u32 v[15:16], null, s18, v19, 0
	v_mov_b32_e32 v11, v13
	v_add_co_u32 v13, s0, s4, v8
	v_mov_b32_e32 v8, v10
	s_wait_alu 0xf1ff
	v_add_co_ci_u32_e64 v9, s0, s5, v9, s0
	s_delay_alu instid0(VALU_DEP_3) | instskip(SKIP_2) | instid1(VALU_DEP_3)
	v_add_co_u32 v29, s0, v13, v2
	v_add_nc_u32_e32 v68, 0xee, v234
	s_wait_alu 0xf1ff
	v_add_co_ci_u32_e64 v30, s0, v9, v3, s0
	v_lshlrev_b64_e32 v[2:3], 4, v[5:6]
	v_mad_co_u64_u32 v[5:6], null, s19, v18, v[11:12]
	v_add_nc_u32_e32 v11, 0x1a9, v234
	v_lshlrev_b64_e32 v[6:7], 4, v[7:8]
	v_mov_b32_e32 v8, v16
	v_add_co_u32 v0, s0, v29, v0
	s_delay_alu instid0(VALU_DEP_4) | instskip(NEXT) | instid1(VALU_DEP_3)
	v_mad_co_u64_u32 v[17:18], null, s18, v11, 0
	v_mad_co_u64_u32 v[8:9], null, s19, v19, v[8:9]
	s_wait_alu 0xf1ff
	v_add_co_ci_u32_e64 v1, s0, v30, v1, s0
	v_add_co_u32 v2, s0, v29, v2
	v_mov_b32_e32 v13, v5
	v_add_nc_u32_e32 v19, 0x1fe, v234
	s_wait_alu 0xf1ff
	v_add_co_ci_u32_e64 v3, s0, v30, v3, s0
	v_add_co_u32 v5, s0, v29, v6
	s_wait_alu 0xf1ff
	v_add_co_ci_u32_e64 v6, s0, v30, v7, s0
	v_dual_mov_b32 v7, v18 :: v_dual_mov_b32 v16, v8
	v_lshlrev_b64_e32 v[9:10], 4, v[12:13]
	v_mad_co_u64_u32 v[13:14], null, s18, v19, 0
	s_delay_alu instid0(VALU_DEP_3) | instskip(SKIP_1) | instid1(VALU_DEP_4)
	v_mad_co_u64_u32 v[11:12], null, s19, v11, v[7:8]
	v_add_nc_u32_e32 v69, 0x198, v234
	v_add_co_u32 v7, s0, v29, v9
	s_wait_alu 0xf1ff
	v_add_co_ci_u32_e64 v8, s0, v30, v10, s0
	v_lshlrev_b64_e32 v[9:10], 4, v[15:16]
	v_mov_b32_e32 v12, v14
	v_mad_co_u64_u32 v[15:16], null, s18, v235, 0
	v_mov_b32_e32 v18, v11
	v_add_nc_u32_e32 v74, 0x242, v234
	s_delay_alu instid0(VALU_DEP_4) | instskip(SKIP_1) | instid1(VALU_DEP_4)
	v_mad_co_u64_u32 v[11:12], null, s19, v19, v[12:13]
	v_add_nc_u32_e32 v23, 0x66, v234
	v_lshlrev_b64_e32 v[17:18], 4, v[17:18]
	v_mov_b32_e32 v12, v16
	v_add_co_u32 v9, s0, v29, v9
	s_wait_alu 0xf1ff
	v_add_co_ci_u32_e64 v10, s0, v30, v10, s0
	v_mov_b32_e32 v14, v11
	v_mad_co_u64_u32 v[19:20], null, s18, v23, 0
	v_mad_co_u64_u32 v[21:22], null, s19, v235, v[12:13]
	v_add_nc_u32_e32 v25, 0xbb, v234
	v_add_co_u32 v11, s0, v29, v17
	s_wait_alu 0xf1ff
	v_add_co_ci_u32_e64 v12, s0, v30, v18, s0
	v_lshlrev_b64_e32 v[13:14], 4, v[13:14]
	v_mov_b32_e32 v16, v21
	v_mad_co_u64_u32 v[21:22], null, s18, v25, 0
	v_mov_b32_e32 v17, v20
	v_add_nc_u32_e32 v33, 0x1ba, v234
	s_delay_alu instid0(VALU_DEP_4) | instskip(SKIP_1) | instid1(VALU_DEP_4)
	v_lshlrev_b64_e32 v[15:16], 4, v[15:16]
	v_add_co_u32 v13, s0, v29, v13
	v_mad_co_u64_u32 v[17:18], null, s19, v23, v[17:18]
	v_dual_mov_b32 v18, v22 :: v_dual_add_nc_u32 v27, 0x110, v234
	s_wait_alu 0xf1ff
	v_add_co_ci_u32_e64 v14, s0, v30, v14, s0
	v_add_co_u32 v15, s0, v29, v15
	s_delay_alu instid0(VALU_DEP_4) | instskip(SKIP_3) | instid1(VALU_DEP_4)
	v_mov_b32_e32 v20, v17
	v_mad_co_u64_u32 v[23:24], null, s18, v27, 0
	v_mad_co_u64_u32 v[17:18], null, s19, v25, v[18:19]
	v_add_nc_u32_e32 v31, 0x165, v234
	v_lshlrev_b64_e32 v[18:19], 4, v[19:20]
	s_wait_alu 0xf1ff
	v_add_co_ci_u32_e64 v16, s0, v30, v16, s0
	v_mov_b32_e32 v20, v24
	v_mad_co_u64_u32 v[25:26], null, s18, v31, 0
	v_mov_b32_e32 v22, v17
	v_add_co_u32 v17, s0, v29, v18
	s_delay_alu instid0(VALU_DEP_4)
	v_mad_co_u64_u32 v[27:28], null, s19, v27, v[20:21]
	s_wait_alu 0xf1ff
	v_add_co_ci_u32_e64 v18, s0, v30, v19, s0
	v_lshlrev_b64_e32 v[19:20], 4, v[21:22]
	v_mov_b32_e32 v21, v26
	v_add_nc_u32_e32 v39, 0x77, v234
	v_dual_mov_b32 v24, v27 :: v_dual_add_nc_u32 v43, 0x121, v234
	v_mad_co_u64_u32 v[27:28], null, s18, v33, 0
	s_delay_alu instid0(VALU_DEP_4) | instskip(SKIP_1) | instid1(VALU_DEP_4)
	v_mad_co_u64_u32 v[21:22], null, s19, v31, v[21:22]
	v_add_nc_u32_e32 v35, 0x20f, v234
	v_lshlrev_b64_e32 v[22:23], 4, v[23:24]
	v_add_co_u32 v19, s0, v29, v19
	v_mov_b32_e32 v24, v28
	s_delay_alu instid0(VALU_DEP_4)
	v_mad_co_u64_u32 v[31:32], null, s18, v35, 0
	v_mov_b32_e32 v26, v21
	s_wait_alu 0xf1ff
	v_add_co_ci_u32_e64 v20, s0, v30, v20, s0
	v_mad_co_u64_u32 v[33:34], null, s19, v33, v[24:25]
	v_add_co_u32 v21, s0, v29, v22
	s_wait_alu 0xf1ff
	v_add_co_ci_u32_e64 v22, s0, v30, v23, s0
	v_lshlrev_b64_e32 v[23:24], 4, v[25:26]
	s_delay_alu instid0(VALU_DEP_4) | instskip(SKIP_3) | instid1(VALU_DEP_4)
	v_dual_mov_b32 v25, v32 :: v_dual_mov_b32 v28, v33
	v_add_nc_u32_e32 v41, 0xcc, v234
	v_add_nc_u32_e32 v45, 0x176, v234
	;; [unrolled: 1-line block ×3, first 2 shown]
	v_mad_co_u64_u32 v[25:26], null, s19, v35, v[25:26]
	v_mad_co_u64_u32 v[35:36], null, s18, v39, 0
	v_add_nc_u32_e32 v238, 34, v234
	v_lshlrev_b64_e32 v[26:27], 4, v[27:28]
	v_add_co_u32 v23, s0, v29, v23
	v_mov_b32_e32 v32, v25
	s_delay_alu instid0(VALU_DEP_4)
	v_mad_co_u64_u32 v[33:34], null, s18, v238, 0
	s_wait_alu 0xf1ff
	v_add_co_ci_u32_e64 v24, s0, v30, v24, s0
	v_add_co_u32 v25, s0, v29, v26
	s_wait_alu 0xf1ff
	v_add_co_ci_u32_e64 v26, s0, v30, v27, s0
	s_delay_alu instid0(VALU_DEP_4)
	v_dual_mov_b32 v28, v34 :: v_dual_add_nc_u32 v53, 0x88, v234
	v_add_nc_u32_e32 v51, 51, v234
	scratch_store_b32 off, v64, off offset:8 ; 4-byte Folded Spill
	v_add_nc_u32_e32 v57, 0x132, v234
	v_mad_co_u64_u32 v[37:38], null, s19, v238, v[28:29]
	v_lshlrev_b64_e32 v[27:28], 4, v[31:32]
	v_mov_b32_e32 v31, v36
	scratch_store_b32 off, v51, off         ; 4-byte Folded Spill
	v_add_nc_u32_e32 v55, 0xdd, v234
	v_add_nc_u32_e32 v61, 0x1dc, v234
	v_dual_mov_b32 v34, v37 :: v_dual_add_nc_u32 v67, 0x99, v234
	v_mad_co_u64_u32 v[37:38], null, s18, v41, 0
	v_mad_co_u64_u32 v[31:32], null, s19, v39, v[31:32]
	s_delay_alu instid0(VALU_DEP_3)
	v_lshlrev_b64_e32 v[32:33], 4, v[33:34]
	v_mad_co_u64_u32 v[39:40], null, s18, v43, 0
	v_add_co_u32 v27, s0, v29, v27
	v_mov_b32_e32 v34, v38
	v_mov_b32_e32 v36, v31
	s_wait_alu 0xf1ff
	v_add_co_ci_u32_e64 v28, s0, v30, v28, s0
	v_add_co_u32 v31, s0, v29, v32
	v_mad_co_u64_u32 v[41:42], null, s19, v41, v[34:35]
	s_wait_alu 0xf1ff
	v_add_co_ci_u32_e64 v32, s0, v30, v33, s0
	v_lshlrev_b64_e32 v[33:34], 4, v[35:36]
	v_mov_b32_e32 v35, v40
	s_delay_alu instid0(VALU_DEP_1) | instskip(SKIP_4) | instid1(VALU_DEP_3)
	v_mad_co_u64_u32 v[35:36], null, s19, v43, v[35:36]
	v_mad_co_u64_u32 v[43:44], null, s18, v47, 0
	v_mov_b32_e32 v38, v41
	v_mad_co_u64_u32 v[41:42], null, s18, v45, 0
	v_add_co_u32 v33, s0, v29, v33
	v_lshlrev_b64_e32 v[36:37], 4, v[37:38]
	v_mov_b32_e32 v40, v35
	s_wait_alu 0xf1ff
	v_add_co_ci_u32_e64 v34, s0, v30, v34, s0
	v_mov_b32_e32 v38, v42
	s_delay_alu instid0(VALU_DEP_4) | instskip(SKIP_2) | instid1(VALU_DEP_3)
	v_add_co_u32 v35, s0, v29, v36
	s_wait_alu 0xf1ff
	v_add_co_ci_u32_e64 v36, s0, v30, v37, s0
	v_mad_co_u64_u32 v[45:46], null, s19, v45, v[38:39]
	v_lshlrev_b64_e32 v[37:38], 4, v[39:40]
	v_mov_b32_e32 v39, v44
	s_delay_alu instid0(VALU_DEP_1) | instskip(SKIP_4) | instid1(VALU_DEP_3)
	v_mad_co_u64_u32 v[39:40], null, s19, v47, v[39:40]
	v_mad_co_u64_u32 v[47:48], null, s18, v51, 0
	v_mov_b32_e32 v42, v45
	v_mad_co_u64_u32 v[45:46], null, s18, v49, 0
	v_add_co_u32 v37, s0, v29, v37
	v_lshlrev_b64_e32 v[40:41], 4, v[41:42]
	v_mov_b32_e32 v44, v39
	s_wait_alu 0xf1ff
	v_add_co_ci_u32_e64 v38, s0, v30, v38, s0
	v_mov_b32_e32 v42, v46
	s_delay_alu instid0(VALU_DEP_4) | instskip(SKIP_2) | instid1(VALU_DEP_3)
	v_add_co_u32 v39, s0, v29, v40
	s_wait_alu 0xf1ff
	v_add_co_ci_u32_e64 v40, s0, v30, v41, s0
	v_mad_co_u64_u32 v[49:50], null, s19, v49, v[42:43]
	;; [unrolled: 18-line block ×3, first 2 shown]
	v_lshlrev_b64_e32 v[45:46], 4, v[47:48]
	s_delay_alu instid0(VALU_DEP_2) | instskip(SKIP_1) | instid1(VALU_DEP_2)
	v_dual_mov_b32 v47, v52 :: v_dual_mov_b32 v50, v53
	v_mad_co_u64_u32 v[53:54], null, s18, v57, 0
	v_mad_co_u64_u32 v[47:48], null, s19, v55, v[47:48]
	s_delay_alu instid0(VALU_DEP_3)
	v_lshlrev_b64_e32 v[48:49], 4, v[49:50]
	v_mad_co_u64_u32 v[55:56], null, s18, v60, 0
	v_add_co_u32 v45, s0, v29, v45
	v_mov_b32_e32 v50, v54
	v_mov_b32_e32 v52, v47
	s_wait_alu 0xf1ff
	v_add_co_ci_u32_e64 v46, s0, v30, v46, s0
	v_add_co_u32 v47, s0, v29, v48
	v_mad_co_u64_u32 v[57:58], null, s19, v57, v[50:51]
	s_wait_alu 0xf1ff
	v_add_co_ci_u32_e64 v48, s0, v30, v49, s0
	v_lshlrev_b64_e32 v[49:50], 4, v[51:52]
	v_mov_b32_e32 v51, v56
	v_mad_co_u64_u32 v[58:59], null, s18, v61, 0
	v_mov_b32_e32 v54, v57
	s_delay_alu instid0(VALU_DEP_3) | instskip(SKIP_1) | instid1(VALU_DEP_3)
	v_mad_co_u64_u32 v[51:52], null, s19, v60, v[51:52]
	v_add_co_u32 v49, s0, v29, v49
	v_lshlrev_b64_e32 v[53:54], 4, v[53:54]
	v_mov_b32_e32 v52, v59
	s_wait_alu 0xf1ff
	v_add_co_ci_u32_e64 v50, s0, v30, v50, s0
	v_mov_b32_e32 v56, v51
	s_delay_alu instid0(VALU_DEP_3)
	v_mad_co_u64_u32 v[51:52], null, s19, v61, v[52:53]
	v_mad_co_u64_u32 v[60:61], null, s18, v62, 0
	v_add_co_u32 v52, s0, v29, v53
	s_wait_alu 0xf1ff
	v_add_co_ci_u32_e64 v53, s0, v30, v54, s0
	v_lshlrev_b64_e32 v[54:55], 4, v[55:56]
	v_mad_co_u64_u32 v[56:57], null, s18, v64, 0
	v_mov_b32_e32 v59, v51
	v_mov_b32_e32 v51, v61
	s_delay_alu instid0(VALU_DEP_4) | instskip(SKIP_2) | instid1(VALU_DEP_3)
	v_add_co_u32 v54, s0, v29, v54
	s_wait_alu 0xf1ff
	v_add_co_ci_u32_e64 v55, s0, v30, v55, s0
	v_mad_co_u64_u32 v[61:62], null, s19, v62, v[51:52]
	v_mov_b32_e32 v51, v57
	v_mad_co_u64_u32 v[62:63], null, s18, v67, 0
	v_lshlrev_b64_e32 v[57:58], 4, v[58:59]
	s_delay_alu instid0(VALU_DEP_3) | instskip(SKIP_1) | instid1(VALU_DEP_4)
	v_mad_co_u64_u32 v[64:65], null, s19, v64, v[51:52]
	v_mad_co_u64_u32 v[65:66], null, s18, v68, 0
	v_mov_b32_e32 v51, v63
	s_delay_alu instid0(VALU_DEP_4)
	v_add_co_u32 v72, s0, v29, v57
	s_wait_alu 0xf1ff
	v_add_co_ci_u32_e64 v73, s0, v30, v58, s0
	v_lshlrev_b64_e32 v[58:59], 4, v[60:61]
	v_mad_co_u64_u32 v[60:61], null, s19, v67, v[51:52]
	v_mov_b32_e32 v51, v66
	v_mov_b32_e32 v57, v64
	s_delay_alu instid0(VALU_DEP_4)
	v_add_co_u32 v82, s0, v29, v58
	s_wait_alu 0xf1ff
	v_add_co_ci_u32_e64 v83, s0, v30, v59, s0
	v_mov_b32_e32 v63, v60
	v_mad_co_u64_u32 v[58:59], null, s19, v68, v[51:52]
	v_add_nc_u32_e32 v61, 0x143, v234
	v_lshlrev_b64_e32 v[56:57], 4, v[56:57]
	s_delay_alu instid0(VALU_DEP_4)
	v_lshlrev_b64_e32 v[59:60], 4, v[62:63]
	v_mad_co_u64_u32 v[67:68], null, s18, v69, 0
	v_mov_b32_e32 v66, v58
	v_mad_co_u64_u32 v[62:63], null, s18, v61, 0
	v_add_co_u32 v56, s0, v29, v56
	s_wait_alu 0xf1ff
	v_add_co_ci_u32_e64 v57, s0, v30, v57, s0
	v_add_co_u32 v84, s0, v29, v59
	s_delay_alu instid0(VALU_DEP_4)
	v_mov_b32_e32 v51, v63
	s_wait_alu 0xf1ff
	v_add_co_ci_u32_e64 v85, s0, v30, v60, s0
	v_mov_b32_e32 v60, v68
	v_lshlrev_b64_e32 v[58:59], 4, v[65:66]
	v_mad_co_u64_u32 v[63:64], null, s19, v61, v[51:52]
	s_delay_alu instid0(VALU_DEP_3)
	v_mad_co_u64_u32 v[64:65], null, s19, v69, v[60:61]
	v_add_nc_u32_e32 v71, 0x1ed, v234
	v_mad_co_u64_u32 v[69:70], null, s18, v74, 0
	v_add_co_u32 v86, s0, v29, v58
	s_wait_alu 0xf1ff
	v_add_co_ci_u32_e64 v87, s0, v30, v59, s0
	v_mov_b32_e32 v68, v64
	v_mad_co_u64_u32 v[65:66], null, s18, v71, 0
	s_clause 0x1
	global_load_b128 v[58:61], v[0:1], off
	global_load_b128 v[78:81], v[2:3], off
	v_lshlrev_b64_e32 v[2:3], 4, v[62:63]
	s_clause 0x3
	global_load_b128 v[118:121], v[5:6], off
	global_load_b128 v[106:109], v[7:8], off
	;; [unrolled: 1-line block ×4, first 2 shown]
	v_mov_b32_e32 v51, v66
	v_add_co_u32 v88, s0, v29, v2
	s_wait_alu 0xf1ff
	v_add_co_ci_u32_e64 v89, s0, v30, v3, s0
	s_delay_alu instid0(VALU_DEP_3) | instskip(SKIP_1) | instid1(VALU_DEP_1)
	v_mad_co_u64_u32 v[0:1], null, s19, v71, v[51:52]
	v_mov_b32_e32 v1, v70
	v_mad_co_u64_u32 v[5:6], null, s19, v74, v[1:2]
	s_delay_alu instid0(VALU_DEP_3) | instskip(SKIP_1) | instid1(VALU_DEP_2)
	v_mov_b32_e32 v66, v0
	v_lshlrev_b64_e32 v[6:7], 4, v[67:68]
	v_lshlrev_b64_e32 v[0:1], 4, v[65:66]
	s_delay_alu instid0(VALU_DEP_4) | instskip(NEXT) | instid1(VALU_DEP_3)
	v_mov_b32_e32 v70, v5
	v_add_co_u32 v5, s0, v29, v6
	s_wait_alu 0xf1ff
	s_delay_alu instid0(VALU_DEP_4) | instskip(NEXT) | instid1(VALU_DEP_3)
	v_add_co_ci_u32_e64 v6, s0, v30, v7, s0
	v_lshlrev_b64_e32 v[2:3], 4, v[69:70]
	v_add_co_u32 v7, s0, v29, v0
	s_wait_alu 0xf1ff
	v_add_co_ci_u32_e64 v8, s0, v30, v1, s0
	s_delay_alu instid0(VALU_DEP_3)
	v_add_co_u32 v9, s0, v29, v2
	s_wait_alu 0xf1ff
	v_add_co_ci_u32_e64 v10, s0, v30, v3, s0
	s_clause 0x1c
	global_load_b128 v[194:197], v[13:14], off
	global_load_b128 v[74:77], v[15:16], off
	;; [unrolled: 1-line block ×29, first 2 shown]
.LBB0_12:
	s_or_b32 exec_lo, exec_lo, s1
	s_wait_loadcnt 0x1c
	v_add_f64_e32 v[5:6], v[194:195], v[78:79]
	v_add_f64_e32 v[7:8], v[190:191], v[118:119]
	s_wait_loadcnt 0x15
	v_add_f64_e32 v[9:10], v[166:167], v[162:163]
	v_add_f64_e32 v[11:12], v[182:183], v[178:179]
	;; [unrolled: 3-line block ×3, first 2 shown]
	v_add_f64_e64 v[19:20], v[120:121], -v[192:193]
	v_add_f64_e64 v[21:22], v[188:189], -v[108:109]
	;; [unrolled: 1-line block ×3, first 2 shown]
	s_wait_loadcnt 0x7
	v_add_f64_e32 v[25:26], v[114:115], v[110:111]
	v_add_f64_e32 v[27:28], v[134:135], v[130:131]
	s_wait_loadcnt 0x0
	v_add_f64_e32 v[35:36], v[94:95], v[82:83]
	v_add_f64_e32 v[37:38], v[102:103], v[98:99]
	;; [unrolled: 1-line block ×3, first 2 shown]
	v_add_f64_e64 v[29:30], v[180:181], -v[184:185]
	v_add_f64_e64 v[31:32], v[176:177], -v[172:173]
	;; [unrolled: 1-line block ×3, first 2 shown]
	v_add_f64_e32 v[39:40], v[174:175], v[170:171]
	v_add_f64_e64 v[41:42], v[156:157], -v[160:161]
	v_add_f64_e64 v[43:44], v[152:153], -v[148:149]
	;; [unrolled: 1-line block ×3, first 2 shown]
	v_add_f64_e32 v[49:50], v[150:151], v[146:147]
	v_add_f64_e64 v[51:52], v[132:133], -v[136:137]
	v_add_f64_e64 v[53:54], v[128:129], -v[124:125]
	v_add_f64_e32 v[55:56], v[126:127], v[122:123]
	v_add_f64_e64 v[72:73], v[112:113], -v[116:117]
	v_add_f64_e64 v[198:199], v[100:101], -v[104:105]
	;; [unrolled: 1-line block ×3, first 2 shown]
	v_add_f64_e32 v[206:207], v[90:91], v[86:87]
	s_mov_b32 s22, 0xe976ee23
	s_mov_b32 s4, 0x429ad128
	s_mov_b32 s23, 0x3fe11646
	s_mov_b32 s5, 0xbfebfeb5
	v_add_f64_e64 v[204:205], v[84:85], -v[96:97]
	s_mov_b32 s10, 0xb247c609
	s_mov_b32 s24, 0x37e14327
	;; [unrolled: 1-line block ×5, first 2 shown]
	v_add_f64_e32 v[45:46], v[7:8], v[5:6]
	s_mov_b32 s25, 0x3fe948f6
	v_add_f64_e32 v[66:67], v[11:12], v[9:10]
	s_mov_b32 s21, 0x3fac98ee
	v_add_f64_e32 v[202:203], v[15:16], v[13:14]
	s_wait_alu 0xfffe
	s_mov_b32 s12, s10
	v_add_f64_e64 v[208:209], v[21:22], -v[19:20]
	v_add_f64_e64 v[212:213], v[19:20], -v[23:24]
	s_mov_b32 s14, 0x5476071b
	v_add_f64_e32 v[214:215], v[27:28], v[25:26]
	s_mov_b32 s28, 0xaaaaaaaa
	v_add_f64_e32 v[222:223], v[37:38], v[35:36]
	v_add_f64_e64 v[210:211], v[5:6], -v[17:18]
	v_add_f64_e64 v[216:217], v[17:18], -v[7:8]
	;; [unrolled: 1-line block ×5, first 2 shown]
	v_add_f64_e32 v[7:8], v[21:22], v[19:20]
	v_add_f64_e64 v[19:20], v[23:24], -v[21:22]
	v_add_f64_e32 v[21:22], v[31:32], v[29:30]
	v_add_f64_e64 v[29:30], v[9:10], -v[39:40]
	v_add_f64_e64 v[224:225], v[39:40], -v[11:12]
	v_add_f64_e32 v[226:227], v[43:44], v[41:42]
	v_add_f64_e64 v[228:229], v[43:44], -v[41:42]
	v_add_f64_e64 v[41:42], v[41:42], -v[47:48]
	;; [unrolled: 1-line block ×3, first 2 shown]
	v_add_f64_e32 v[239:240], v[53:54], v[51:52]
	v_add_f64_e64 v[241:242], v[53:54], -v[51:52]
	v_add_f64_e64 v[51:52], v[51:52], -v[72:73]
	;; [unrolled: 1-line block ×5, first 2 shown]
	v_add_f64_e32 v[245:246], v[200:201], v[198:199]
	v_add_f64_e64 v[198:199], v[198:199], -v[204:205]
	v_add_f64_e64 v[31:32], v[33:34], -v[31:32]
	;; [unrolled: 1-line block ×3, first 2 shown]
	s_mov_b32 s15, 0x3fe77f67
	s_mov_b32 s19, 0xbfe77f67
	v_add_f64_e32 v[17:18], v[17:18], v[45:46]
	v_add_f64_e64 v[45:46], v[13:14], -v[49:50]
	v_add_f64_e32 v[39:40], v[39:40], v[66:67]
	v_add_f64_e64 v[66:67], v[25:26], -v[55:56]
	;; [unrolled: 2-line block ×3, first 2 shown]
	v_mul_f64_e32 v[208:209], s[22:23], v[208:209]
	v_mul_f64_e32 v[11:12], s[4:5], v[212:213]
	v_add_f64_e64 v[13:14], v[15:16], -v[13:14]
	v_add_f64_e32 v[55:56], v[55:56], v[214:215]
	v_add_f64_e64 v[25:26], v[27:28], -v[25:26]
	v_add_f64_e32 v[15:16], v[206:207], v[222:223]
	v_mul_f64_e32 v[210:211], s[24:25], v[210:211]
	v_mul_f64_e32 v[214:215], s[20:21], v[216:217]
	;; [unrolled: 1-line block ×4, first 2 shown]
	v_add_f64_e64 v[206:207], v[206:207], -v[37:38]
	v_add_f64_e64 v[27:28], v[72:73], -v[53:54]
	;; [unrolled: 1-line block ×4, first 2 shown]
	v_add_f64_e32 v[7:8], v[7:8], v[23:24]
	v_add_f64_e32 v[21:22], v[21:22], v[33:34]
	v_mul_f64_e32 v[23:24], s[24:25], v[29:30]
	v_mul_f64_e32 v[29:30], s[20:21], v[224:225]
	v_add_f64_e32 v[33:34], v[226:227], v[47:48]
	v_mul_f64_e32 v[47:48], s[22:23], v[228:229]
	v_mul_f64_e32 v[200:201], s[20:21], v[236:237]
	v_add_f64_e32 v[72:73], v[239:240], v[72:73]
	v_mul_f64_e32 v[226:227], s[22:23], v[241:242]
	v_mul_f64_e32 v[228:229], s[4:5], v[51:52]
	v_mul_f64_e32 v[239:240], s[20:21], v[243:244]
	v_mul_f64_e32 v[241:242], s[22:23], v[247:248]
	s_mov_b32 s18, s14
	s_mov_b32 s29, 0xbff2aaaa
	v_add_f64_e32 v[204:205], v[245:246], v[204:205]
	v_mul_f64_e32 v[245:246], s[4:5], v[198:199]
	s_mov_b32 s26, 0x37c3f68c
	s_mov_b32 s27, 0xbfdc38aa
	v_add_f64_e32 v[53:54], v[58:59], v[17:18]
	v_mul_f64_e32 v[57:58], s[4:5], v[41:42]
	v_mul_f64_e32 v[45:46], s[24:25], v[45:46]
	v_add_f64_e32 v[74:75], v[74:75], v[39:40]
	v_mul_f64_e32 v[66:67], s[24:25], v[66:67]
	v_add_f64_e32 v[68:69], v[68:69], v[49:50]
	v_mul_f64_e32 v[202:203], s[24:25], v[202:203]
	v_fma_f64 v[212:213], v[212:213], s[4:5], -v[208:209]
	v_fma_f64 v[208:209], v[19:20], s[10:11], v[208:209]
	v_fma_f64 v[11:12], v[19:20], s[12:13], -v[11:12]
	v_add_f64_e32 v[19:20], v[62:63], v[55:56]
	v_add_f64_e32 v[0:1], v[0:1], v[15:16]
	v_fma_f64 v[62:63], v[216:217], s[20:21], v[210:211]
	v_fma_f64 v[214:215], v[5:6], s[14:15], -v[214:215]
	s_wait_alu 0xfffe
	v_fma_f64 v[5:6], v[5:6], s[18:19], -v[210:211]
	v_fma_f64 v[210:211], v[220:221], s[4:5], -v[218:219]
	v_fma_f64 v[216:217], v[31:32], s[10:11], v[218:219]
	v_fma_f64 v[31:32], v[31:32], s[12:13], -v[222:223]
	v_mul_f64_e32 v[218:219], s[20:21], v[206:207]
	v_mul_hi_u32 v59, 0xaaaaaaab, v4
	s_load_b64 s[2:3], s[2:3], 0x0
	v_cmp_eq_u32_e64 s0, 0, v234
	v_fma_f64 v[220:221], v[224:225], s[20:21], v[23:24]
	v_fma_f64 v[29:30], v[9:10], s[14:15], -v[29:30]
	v_fma_f64 v[9:10], v[9:10], s[18:19], -v[23:24]
	;; [unrolled: 1-line block ×3, first 2 shown]
	v_fma_f64 v[41:42], v[43:44], s[10:11], v[47:48]
	v_lshrrev_b32_e32 v59, 1, v59
	v_fma_f64 v[222:223], v[25:26], s[14:15], -v[239:240]
	s_delay_alu instid0(VALU_DEP_2) | instskip(NEXT) | instid1(VALU_DEP_1)
	v_lshl_add_u32 v59, v59, 1, v59
	v_sub_nc_u32_e32 v4, v4, v59
	v_fma_f64 v[17:18], v[17:18], s[28:29], v[53:54]
	v_fma_f64 v[43:44], v[43:44], s[12:13], -v[57:58]
	v_fma_f64 v[47:48], v[236:237], s[20:21], v[45:46]
	v_fma_f64 v[39:40], v[39:40], s[28:29], v[74:75]
	v_fma_f64 v[57:58], v[13:14], s[14:15], -v[200:201]
	v_fma_f64 v[13:14], v[13:14], s[18:19], -v[45:46]
	v_fma_f64 v[45:46], v[49:50], s[28:29], v[68:69]
	v_fma_f64 v[49:50], v[51:52], s[4:5], -v[226:227]
	v_fma_f64 v[51:52], v[27:28], s[10:11], v[226:227]
	;; [unrolled: 2-line block ×3, first 2 shown]
	v_fma_f64 v[55:56], v[55:56], s[28:29], v[19:20]
	v_fma_f64 v[25:26], v[25:26], s[18:19], -v[66:67]
	v_fma_f64 v[66:67], v[198:199], s[4:5], -v[241:242]
	v_fma_f64 v[198:199], v[37:38], s[10:11], v[241:242]
	v_fma_f64 v[206:207], v[206:207], s[20:21], v[202:203]
	v_fma_f64 v[15:16], v[15:16], s[28:29], v[0:1]
	v_fma_f64 v[37:38], v[37:38], s[12:13], -v[245:246]
	v_fma_f64 v[202:203], v[35:36], s[18:19], -v[202:203]
	;; [unrolled: 1-line block ×3, first 2 shown]
	v_fma_f64 v[208:209], v[7:8], s[26:27], v[208:209]
	v_fma_f64 v[212:213], v[7:8], s[26:27], v[212:213]
	;; [unrolled: 1-line block ×4, first 2 shown]
	v_mul_u32_u24_e32 v4, 0x253, v4
	v_fma_f64 v[23:24], v[33:34], s[26:27], v[23:24]
                                        ; implicit-def: $vgpr242_vgpr243
	s_delay_alu instid0(VALU_DEP_2) | instskip(NEXT) | instid1(VALU_DEP_1)
	v_lshlrev_b32_e32 v59, 3, v4
	v_add_nc_u32_e32 v246, 0, v59
	scratch_store_b32 off, v59, off offset:20 ; 4-byte Folded Spill
	v_add_f64_e32 v[11:12], v[62:63], v[17:18]
	v_add_f64_e32 v[5:6], v[5:6], v[17:18]
	v_fma_f64 v[62:63], v[21:22], s[26:27], v[216:217]
	v_fma_f64 v[21:22], v[21:22], s[26:27], v[31:32]
	v_add_f64_e32 v[31:32], v[220:221], v[39:40]
	v_add_f64_e32 v[9:10], v[9:10], v[39:40]
	;; [unrolled: 1-line block ×3, first 2 shown]
	v_fma_f64 v[39:40], v[33:34], s[26:27], v[41:42]
	v_fma_f64 v[33:34], v[33:34], s[26:27], v[43:44]
	v_add_f64_e32 v[41:42], v[47:48], v[45:46]
	v_add_f64_e32 v[13:14], v[13:14], v[45:46]
	;; [unrolled: 1-line block ×3, first 2 shown]
	v_fma_f64 v[45:46], v[72:73], s[26:27], v[51:52]
	v_fma_f64 v[47:48], v[72:73], s[26:27], v[49:50]
	;; [unrolled: 1-line block ×3, first 2 shown]
	v_add_f64_e32 v[49:50], v[200:201], v[55:56]
	v_add_f64_e32 v[25:26], v[25:26], v[55:56]
	;; [unrolled: 1-line block ×3, first 2 shown]
	v_fma_f64 v[55:56], v[204:205], s[26:27], v[198:199]
	v_fma_f64 v[57:58], v[204:205], s[26:27], v[66:67]
	v_add_f64_e32 v[66:67], v[206:207], v[15:16]
	v_fma_f64 v[37:38], v[204:205], s[26:27], v[37:38]
	v_add_f64_e32 v[72:73], v[202:203], v[15:16]
	v_add_f64_e32 v[15:16], v[35:36], v[15:16]
	;; [unrolled: 1-line block ×3, first 2 shown]
	v_mad_u32_u24 v250, v234, 56, v246
	v_mad_i32_i24 v249, v235, 56, v246
	v_mad_i32_i24 v248, v238, 56, v246
	v_add_f64_e32 v[35:36], v[208:209], v[11:12]
	v_add_f64_e32 v[198:199], v[7:8], v[5:6]
	v_add_f64_e64 v[6:7], v[5:6], -v[7:8]
	v_add_f64_e64 v[11:12], v[11:12], -v[208:209]
	v_add_f64_e32 v[202:203], v[62:63], v[31:32]
	v_add_f64_e32 v[204:205], v[21:22], v[9:10]
	v_add_f64_e64 v[8:9], v[9:10], -v[21:22]
	v_add_f64_e64 v[21:22], v[31:32], -v[62:63]
	;; [unrolled: 1-line block ×3, first 2 shown]
	v_add_f64_e32 v[31:32], v[39:40], v[41:42]
	v_add_f64_e32 v[208:209], v[33:34], v[13:14]
	v_add_f64_e64 v[13:14], v[13:14], -v[33:34]
	v_add_f64_e64 v[33:34], v[41:42], -v[39:40]
	v_add_f64_e32 v[29:30], v[210:211], v[29:30]
	v_add_f64_e64 v[210:211], v[43:44], -v[23:24]
	v_add_f64_e32 v[39:40], v[45:46], v[49:50]
	v_add_f64_e32 v[41:42], v[27:28], v[25:26]
	v_add_f64_e64 v[25:26], v[25:26], -v[27:28]
	v_add_f64_e64 v[27:28], v[49:50], -v[45:46]
	v_add_f64_e32 v[23:24], v[23:24], v[43:44]
	v_add_f64_e32 v[45:46], v[55:56], v[66:67]
	v_add_f64_e64 v[4:5], v[66:67], -v[55:56]
	scratch_load_b32 v55, off, off          ; 4-byte Folded Reload
	v_add_f64_e64 v[43:44], v[51:52], -v[47:48]
	v_add_f64_e64 v[200:201], v[17:18], -v[212:213]
	v_add_f64_e32 v[17:18], v[212:213], v[17:18]
	v_add_f64_e32 v[47:48], v[47:48], v[51:52]
	;; [unrolled: 1-line block ×3, first 2 shown]
	v_add_f64_e64 v[51:52], v[15:16], -v[57:58]
	v_add_f64_e32 v[15:16], v[57:58], v[15:16]
	v_add_f64_e64 v[37:38], v[72:73], -v[37:38]
	v_lshlrev_b32_e32 v10, 3, v234
	s_delay_alu instid0(VALU_DEP_1) | instskip(SKIP_1) | instid1(VALU_DEP_2)
	v_add3_u32 v239, 0, v10, v59
	v_add_nc_u32_e32 v10, v246, v10
	v_add_nc_u32_e32 v245, 0x400, v239
	;; [unrolled: 1-line block ×4, first 2 shown]
	s_wait_loadcnt 0x0
	v_mad_i32_i24 v247, v55, 56, v246
	scratch_load_b32 v55, off, off offset:8 ; 4-byte Folded Reload
	s_wait_loadcnt 0x0
	v_mad_i32_i24 v62, v55, 56, v246
	v_lshl_add_u32 v55, v235, 3, v246
	ds_store_2addr_b64 v250, v[53:54], v[35:36] offset1:1
	ds_store_2addr_b64 v250, v[198:199], v[200:201] offset0:2 offset1:3
	ds_store_2addr_b64 v250, v[17:18], v[6:7] offset0:4 offset1:5
	ds_store_b64 v250, v[11:12] offset:48
	ds_store_2addr_b64 v249, v[74:75], v[202:203] offset1:1
	ds_store_2addr_b64 v249, v[204:205], v[206:207] offset0:2 offset1:3
	ds_store_2addr_b64 v249, v[29:30], v[8:9] offset0:4 offset1:5
	ds_store_b64 v249, v[21:22] offset:48
	;; [unrolled: 4-line block ×5, first 2 shown]
	global_wb scope:SCOPE_SE
	s_wait_storecnt_dscnt 0x0
	s_wait_kmcnt 0x0
	s_barrier_signal -1
	s_barrier_wait -1
	global_inv scope:SCOPE_SE
	s_clause 0x1
	scratch_store_b32 off, v10, off offset:12
	scratch_store_b32 off, v55, off offset:16
	ds_load_b64 v[240:241], v10
	ds_load_b64 v[236:237], v55
	ds_load_2addr_b64 v[226:229], v239 offset0:35 offset1:52
	ds_load_2addr_b64 v[222:225], v239 offset0:70 offset1:87
	;; [unrolled: 1-line block ×16, first 2 shown]
                                        ; implicit-def: $vgpr10_vgpr11
                                        ; implicit-def: $vgpr14_vgpr15
                                        ; implicit-def: $vgpr18_vgpr19
                                        ; implicit-def: $vgpr22_vgpr23
                                        ; implicit-def: $vgpr26_vgpr27
                                        ; implicit-def: $vgpr30_vgpr31
                                        ; implicit-def: $vgpr34_vgpr35
	s_and_saveexec_b32 s1, s0
	s_cbranch_execz .LBB0_14
; %bb.13:
	v_add_nc_u32_e32 v0, 0x400, v246
	v_add_nc_u32_e32 v1, 0x800, v246
	v_add_nc_u32_e32 v8, 0x1000, v246
	ds_load_2addr_b64 v[4:7], v246 offset0:34 offset1:69
	ds_load_2addr_b64 v[32:35], v246 offset0:104 offset1:139
	ds_load_2addr_b64 v[28:31], v246 offset0:174 offset1:209
	ds_load_2addr_b64 v[24:27], v0 offset0:116 offset1:151
	ds_load_2addr_b64 v[20:23], v1 offset0:58 offset1:93
	ds_load_2addr_b64 v[16:19], v1 offset0:128 offset1:163
	ds_load_2addr_b64 v[12:15], v1 offset0:198 offset1:233
	ds_load_2addr_b64 v[8:11], v8 offset0:12 offset1:47
	ds_load_b64 v[242:243], v246 offset:4752
.LBB0_14:
	s_wait_alu 0xfffe
	s_or_b32 exec_lo, exec_lo, s1
	v_add_f64_e32 v[0:1], v[196:197], v[80:81]
	v_add_f64_e32 v[80:81], v[192:193], v[120:121]
	;; [unrolled: 1-line block ×11, first 2 shown]
	v_add_f64_e64 v[104:105], v[118:119], -v[190:191]
	v_add_f64_e64 v[106:107], v[186:187], -v[106:107]
	;; [unrolled: 1-line block ×3, first 2 shown]
	v_add_f64_e32 v[108:109], v[176:177], v[172:173]
	v_add_f64_e64 v[132:133], v[178:179], -v[182:183]
	v_add_f64_e64 v[136:137], v[174:175], -v[170:171]
	v_add_f64_e32 v[148:149], v[152:153], v[148:149]
	v_add_f64_e64 v[156:157], v[162:163], -v[166:167]
	v_add_f64_e64 v[154:155], v[154:155], -v[158:159]
	v_add_f64_e64 v[146:147], v[150:151], -v[146:147]
	v_add_f64_e64 v[138:139], v[138:139], -v[142:143]
	v_add_f64_e32 v[124:125], v[128:129], v[124:125]
	v_add_f64_e64 v[128:129], v[130:131], -v[134:135]
	v_add_f64_e64 v[122:123], v[126:127], -v[122:123]
	;; [unrolled: 5-line block ×3, first 2 shown]
	global_wb scope:SCOPE_SE
	s_wait_storecnt_dscnt 0x0
	s_barrier_signal -1
	s_barrier_wait -1
	global_inv scope:SCOPE_SE
	v_add_f64_e32 v[118:119], v[80:81], v[0:1]
	v_add_f64_e32 v[152:153], v[164:165], v[120:121]
	;; [unrolled: 1-line block ×5, first 2 shown]
	v_add_f64_e64 v[92:93], v[0:1], -v[100:101]
	v_add_f64_e64 v[94:95], v[100:101], -v[80:81]
	;; [unrolled: 1-line block ×9, first 2 shown]
	v_add_f64_e32 v[104:105], v[106:107], v[104:105]
	v_add_f64_e64 v[160:161], v[146:147], -v[154:155]
	v_add_f64_e64 v[162:163], v[154:155], -v[138:139]
	;; [unrolled: 1-line block ×7, first 2 shown]
	v_add_f64_e32 v[128:129], v[122:123], v[128:129]
	v_add_f64_e64 v[170:171], v[86:87], -v[98:99]
	v_add_f64_e64 v[172:173], v[98:99], -v[82:83]
	v_add_f64_e32 v[98:99], v[86:87], v[98:99]
	v_add_f64_e32 v[154:155], v[146:147], v[154:155]
	v_add_f64_e64 v[140:141], v[144:145], -v[140:141]
	v_add_f64_e64 v[122:123], v[110:111], -v[122:123]
	;; [unrolled: 1-line block ×3, first 2 shown]
	v_add_f64_e32 v[100:101], v[100:101], v[118:119]
	v_add_f64_e64 v[118:119], v[136:137], -v[132:133]
	v_add_f64_e32 v[108:109], v[108:109], v[152:153]
	v_add_f64_e64 v[152:153], v[148:149], -v[144:145]
	v_add_f64_e32 v[142:143], v[148:149], v[142:143]
	v_add_f64_e64 v[148:149], v[112:113], -v[124:125]
	v_add_f64_e32 v[114:115], v[124:125], v[114:115]
	v_add_f64_e64 v[124:125], v[84:85], -v[88:89]
	v_add_f64_e32 v[90:91], v[88:89], v[90:91]
	v_add_f64_e32 v[132:133], v[136:137], v[132:133]
	v_add_f64_e64 v[88:89], v[88:89], -v[96:97]
	v_mul_f64_e32 v[92:93], s[24:25], v[92:93]
	v_mul_f64_e32 v[174:175], s[20:21], v[94:95]
	;; [unrolled: 1-line block ×4, first 2 shown]
	v_add_f64_e64 v[136:137], v[156:157], -v[136:137]
	v_mul_f64_e32 v[130:131], s[24:25], v[130:131]
	v_mul_f64_e32 v[176:177], s[20:21], v[134:135]
	v_add_f64_e64 v[144:145], v[138:139], -v[146:147]
	v_mul_f64_e32 v[146:147], s[4:5], v[150:151]
	v_mul_f64_e32 v[158:159], s[24:25], v[158:159]
	;; [unrolled: 3-line block ×3, first 2 shown]
	v_mul_f64_e32 v[168:169], s[22:23], v[168:169]
	v_add_f64_e64 v[84:85], v[96:97], -v[84:85]
	v_mul_f64_e32 v[96:97], s[4:5], v[80:81]
	v_mul_f64_e32 v[180:181], s[20:21], v[166:167]
	;; [unrolled: 1-line block ×3, first 2 shown]
	v_add_f64_e32 v[78:79], v[104:105], v[78:79]
	v_mul_f64_e32 v[104:105], s[4:5], v[172:173]
	v_add_f64_e32 v[82:83], v[98:99], v[82:83]
	v_add_f64_e32 v[110:111], v[128:129], v[110:111]
	;; [unrolled: 1-line block ×4, first 2 shown]
	v_mul_f64_e32 v[118:119], s[22:23], v[118:119]
	v_add_f64_e32 v[76:77], v[76:77], v[108:109]
	v_mul_f64_e32 v[178:179], s[20:21], v[152:153]
	v_add_f64_e32 v[70:71], v[70:71], v[142:143]
	;; [unrolled: 2-line block ×4, first 2 shown]
	v_add_f64_e32 v[132:133], v[132:133], v[156:157]
	v_mul_f64_e32 v[156:157], s[20:21], v[88:89]
	v_fma_f64 v[94:95], v[94:95], s[20:21], v[92:93]
	v_fma_f64 v[98:99], v[0:1], s[14:15], -v[174:175]
	v_fma_f64 v[0:1], v[0:1], s[18:19], -v[92:93]
	v_fma_f64 v[92:93], v[106:107], s[10:11], v[102:103]
	v_fma_f64 v[102:103], v[126:127], s[4:5], -v[102:103]
	v_fma_f64 v[106:107], v[106:107], s[12:13], -v[164:165]
	;; [unrolled: 3-line block ×3, first 2 shown]
	v_fma_f64 v[134:135], v[136:137], s[12:13], -v[146:147]
	v_fma_f64 v[80:81], v[80:81], s[4:5], -v[168:169]
	;; [unrolled: 1-line block ×4, first 2 shown]
	v_fma_f64 v[100:101], v[100:101], s[28:29], v[60:61]
	v_fma_f64 v[130:131], v[136:137], s[10:11], v[118:119]
	;; [unrolled: 1-line block ×3, first 2 shown]
	v_fma_f64 v[118:119], v[150:151], s[4:5], -v[118:119]
	v_fma_f64 v[136:137], v[152:153], s[20:21], v[158:159]
	v_fma_f64 v[150:151], v[144:145], s[10:11], v[116:117]
	;; [unrolled: 1-line block ×3, first 2 shown]
	v_fma_f64 v[146:147], v[140:141], s[14:15], -v[178:179]
	v_fma_f64 v[140:141], v[140:141], s[18:19], -v[158:159]
	;; [unrolled: 1-line block ×4, first 2 shown]
	v_fma_f64 v[152:153], v[166:167], s[20:21], v[148:149]
	v_fma_f64 v[158:159], v[122:123], s[10:11], v[168:169]
	;; [unrolled: 1-line block ×3, first 2 shown]
	v_fma_f64 v[112:113], v[112:113], s[18:19], -v[148:149]
	v_fma_f64 v[88:89], v[88:89], s[20:21], v[124:125]
	v_fma_f64 v[122:123], v[86:87], s[10:11], v[170:171]
	v_fma_f64 v[148:149], v[172:173], s[4:5], -v[170:171]
	v_fma_f64 v[86:87], v[86:87], s[12:13], -v[104:105]
	v_fma_f64 v[90:91], v[90:91], s[28:29], v[2:3]
	v_fma_f64 v[104:105], v[84:85], s[18:19], -v[124:125]
	v_fma_f64 v[84:85], v[84:85], s[14:15], -v[156:157]
	v_fma_f64 v[92:93], v[78:79], s[26:27], v[92:93]
	v_fma_f64 v[102:103], v[78:79], s[26:27], v[102:103]
	v_fma_f64 v[78:79], v[78:79], s[26:27], v[106:107]
	v_fma_f64 v[80:81], v[110:111], s[26:27], v[80:81]
	v_fma_f64 v[96:97], v[110:111], s[26:27], v[96:97]
	v_add_f64_e32 v[94:95], v[94:95], v[100:101]
	v_add_f64_e32 v[0:1], v[0:1], v[100:101]
	;; [unrolled: 1-line block ×3, first 2 shown]
	v_fma_f64 v[100:101], v[132:133], s[26:27], v[130:131]
	v_add_f64_e32 v[124:125], v[126:127], v[108:109]
	v_fma_f64 v[106:107], v[132:133], s[26:27], v[118:119]
	v_fma_f64 v[118:119], v[132:133], s[26:27], v[134:135]
	v_add_f64_e32 v[120:121], v[120:121], v[108:109]
	v_add_f64_e32 v[108:109], v[128:129], v[108:109]
	v_fma_f64 v[126:127], v[138:139], s[26:27], v[150:151]
	v_add_f64_e32 v[130:131], v[136:137], v[142:143]
	v_fma_f64 v[116:117], v[138:139], s[26:27], v[116:117]
	v_fma_f64 v[128:129], v[138:139], s[26:27], v[144:145]
	v_add_f64_e32 v[132:133], v[140:141], v[142:143]
	v_add_f64_e32 v[134:135], v[146:147], v[142:143]
	v_fma_f64 v[136:137], v[110:111], s[26:27], v[158:159]
	v_add_f64_e32 v[110:111], v[152:153], v[114:115]
	v_add_f64_e32 v[112:113], v[112:113], v[114:115]
	;; [unrolled: 1-line block ×3, first 2 shown]
	v_fma_f64 v[122:123], v[82:83], s[26:27], v[122:123]
	v_fma_f64 v[138:139], v[82:83], s[26:27], v[148:149]
	v_fma_f64 v[82:83], v[82:83], s[26:27], v[86:87]
	v_add_f64_e32 v[86:87], v[88:89], v[90:91]
	v_add_f64_e32 v[88:89], v[104:105], v[90:91]
	;; [unrolled: 1-line block ×3, first 2 shown]
	v_add_f64_e64 v[90:91], v[94:95], -v[92:93]
	v_add_f64_e64 v[104:105], v[0:1], -v[78:79]
	v_add_f64_e32 v[140:141], v[102:103], v[98:99]
	v_add_f64_e64 v[98:99], v[98:99], -v[102:103]
	v_add_f64_e32 v[78:79], v[78:79], v[0:1]
	v_add_f64_e32 v[92:93], v[92:93], v[94:95]
	v_add_f64_e64 v[94:95], v[124:125], -v[100:101]
	v_add_f64_e64 v[102:103], v[120:121], -v[118:119]
	v_add_f64_e32 v[142:143], v[106:107], v[108:109]
	v_add_f64_e64 v[106:107], v[108:109], -v[106:107]
	v_add_f64_e32 v[108:109], v[118:119], v[120:121]
	v_add_f64_e32 v[100:101], v[100:101], v[124:125]
	;; [unrolled: 6-line block ×5, first 2 shown]
                                        ; implicit-def: $vgpr86_vgpr87
	ds_store_2addr_b64 v250, v[60:61], v[90:91] offset1:1
	ds_store_2addr_b64 v250, v[104:105], v[140:141] offset0:2 offset1:3
	ds_store_2addr_b64 v250, v[98:99], v[78:79] offset0:4 offset1:5
	ds_store_b64 v250, v[92:93] offset:48
	ds_store_2addr_b64 v249, v[76:77], v[94:95] offset1:1
	ds_store_2addr_b64 v249, v[102:103], v[142:143] offset0:2 offset1:3
	ds_store_2addr_b64 v249, v[106:107], v[108:109] offset0:4 offset1:5
	ds_store_b64 v249, v[100:101] offset:48
	ds_store_2addr_b64 v248, v[70:71], v[118:119] offset1:1
	ds_store_2addr_b64 v248, v[120:121], v[124:125] offset0:2 offset1:3
	ds_store_2addr_b64 v248, v[116:117], v[128:129] offset0:4 offset1:5
	ds_store_b64 v248, v[126:127] offset:48
	ds_store_2addr_b64 v247, v[64:65], v[130:131] offset1:1
	ds_store_2addr_b64 v247, v[132:133], v[134:135] offset0:2 offset1:3
	ds_store_2addr_b64 v247, v[80:81], v[96:97] offset0:4 offset1:5
	ds_store_b64 v247, v[110:111] offset:48
	ds_store_2addr_b64 v62, v[2:3], v[112:113] offset1:1
	ds_store_2addr_b64 v62, v[114:115], v[136:137] offset0:2 offset1:3
	ds_store_2addr_b64 v62, v[84:85], v[82:83] offset0:4 offset1:5
	ds_store_b64 v62, v[0:1] offset:48
	global_wb scope:SCOPE_SE
	s_wait_dscnt 0x0
	s_barrier_signal -1
	s_barrier_wait -1
	global_inv scope:SCOPE_SE
	ds_load_2addr_b64 v[160:163], v239 offset0:35 offset1:52
	ds_load_2addr_b64 v[156:159], v239 offset0:70 offset1:87
	;; [unrolled: 1-line block ×16, first 2 shown]
	scratch_load_b32 v2, off, off offset:12 ; 4-byte Folded Reload
                                        ; implicit-def: $vgpr244_vgpr245
                                        ; implicit-def: $vgpr62_vgpr63
                                        ; implicit-def: $vgpr78_vgpr79
                                        ; implicit-def: $vgpr82_vgpr83
                                        ; implicit-def: $vgpr90_vgpr91
                                        ; implicit-def: $vgpr94_vgpr95
                                        ; implicit-def: $vgpr98_vgpr99
	s_wait_loadcnt 0x0
	ds_load_b64 v[190:191], v2
	v_lshl_add_u32 v2, v235, 3, v246
	ds_load_b64 v[164:165], v2
	s_and_saveexec_b32 s1, s0
	s_cbranch_execz .LBB0_16
; %bb.15:
	v_add_nc_u32_e32 v60, 0x400, v246
	v_add_nc_u32_e32 v61, 0x800, v246
	;; [unrolled: 1-line block ×3, first 2 shown]
	ds_load_2addr_b64 v[0:3], v246 offset0:34 offset1:69
	ds_load_2addr_b64 v[96:99], v246 offset0:104 offset1:139
	;; [unrolled: 1-line block ×8, first 2 shown]
	ds_load_b64 v[244:245], v246 offset:4752
.LBB0_16:
	s_wait_alu 0xfffe
	s_or_b32 exec_lo, exec_lo, s1
	v_and_b32_e32 v64, 0xff, v234
	s_mov_b32 s4, 0x2a9d6da3
	s_mov_b32 s5, 0xbfe58eea
	;; [unrolled: 1-line block ×4, first 2 shown]
	v_mul_lo_u16 v64, v64, 37
	s_mov_b32 s12, 0xeb564b22
	s_mov_b32 s13, 0xbfefdd0d
	;; [unrolled: 1-line block ×4, first 2 shown]
	v_lshrrev_b16 v64, 8, v64
	s_mov_b32 s18, 0x7c9e640b
	s_mov_b32 s19, 0xbfeca52d
	;; [unrolled: 1-line block ×4, first 2 shown]
	v_sub_nc_u16 v65, v234, v64
	s_mov_b32 s22, 0x6c9a05f6
	s_mov_b32 s23, 0xbfe9895b
	;; [unrolled: 1-line block ×4, first 2 shown]
	v_lshrrev_b16 v65, 1, v65
	s_mov_b32 s26, 0xacd6c6b4
	s_mov_b32 s27, 0xbfc7851a
	;; [unrolled: 1-line block ×3, first 2 shown]
	s_wait_alu 0xfffe
	s_mov_b32 s28, s26
	v_and_b32_e32 v65, 0x7f, v65
	s_mov_b32 s30, 0x7faef3
	s_mov_b32 s31, 0xbfef7484
	;; [unrolled: 1-line block ×4, first 2 shown]
	v_add_nc_u16 v64, v65, v64
	v_and_b32_e32 v65, 0xff, v235
	s_mov_b32 s37, 0x3feec746
	s_wait_alu 0xfffe
	s_mov_b32 s36, s34
	s_mov_b32 s38, 0xc61f0d01
	v_lshrrev_b16 v170, 2, v64
	v_mul_lo_u16 v65, v65, 37
	s_mov_b32 s39, 0xbfd183b1
	s_mov_b32 s40, 0x4363dd80
	;; [unrolled: 1-line block ×3, first 2 shown]
	v_mul_lo_u16 v64, v170, 7
	v_lshrrev_b16 v65, 8, v65
	s_mov_b32 s45, 0x3fe0d888
	s_mov_b32 s44, s40
	;; [unrolled: 1-line block ×3, first 2 shown]
	v_sub_nc_u16 v64, v234, v64
	s_mov_b32 s43, 0xbfeb34fa
	s_mov_b32 s47, 0x3fe58eea
	;; [unrolled: 1-line block ×4, first 2 shown]
	v_and_b32_e32 v171, 0xff, v64
	s_mov_b32 s51, 0xbfd71e95
	s_mov_b32 s52, 0x370991
	s_mov_b32 s53, 0x3fedd6d0
	s_mov_b32 s49, 0x3feca52d
	v_lshlrev_b32_e32 v64, 8, v171
	s_mov_b32 s48, s18
	s_mov_b32 s55, 0x3fd71e95
	s_mov_b32 s54, s50
	s_mov_b32 s57, 0x3fefdd0d
	s_clause 0x1
	global_load_b128 v[172:175], v64, s[8:9]
	global_load_b128 v[176:179], v64, s[8:9] offset:16
	s_mov_b32 s56, s12
	s_mov_b32 s59, 0x3fe9895b
	;; [unrolled: 1-line block ×3, first 2 shown]
	s_wait_loadcnt_dscnt 0x111
	v_mul_f64_e32 v[70:71], v[160:161], v[174:175]
	s_delay_alu instid0(VALU_DEP_1) | instskip(SKIP_1) | instid1(VALU_DEP_1)
	v_fma_f64 v[168:169], v[226:227], v[172:173], v[70:71]
	v_mul_f64_e32 v[70:71], v[226:227], v[174:175]
	v_fma_f64 v[247:248], v[160:161], v[172:173], -v[70:71]
	v_sub_nc_u16 v70, v235, v65
	s_delay_alu instid0(VALU_DEP_1) | instskip(NEXT) | instid1(VALU_DEP_1)
	v_lshrrev_b16 v70, 1, v70
	v_and_b32_e32 v70, 0x7f, v70
	s_delay_alu instid0(VALU_DEP_1) | instskip(NEXT) | instid1(VALU_DEP_1)
	v_add_nc_u16 v65, v70, v65
	v_lshrrev_b16 v65, 2, v65
	scratch_store_b32 off, v65, off offset:296 ; 4-byte Folded Spill
	v_mul_lo_u16 v65, v65, 7
	s_delay_alu instid0(VALU_DEP_1) | instskip(NEXT) | instid1(VALU_DEP_1)
	v_sub_nc_u16 v65, v235, v65
	v_and_b32_e32 v65, 0xff, v65
	s_delay_alu instid0(VALU_DEP_1)
	v_lshlrev_b32_e32 v246, 8, v65
	scratch_store_b32 off, v65, off offset:312 ; 4-byte Folded Spill
	s_clause 0x1
	global_load_b128 v[172:175], v246, s[8:9]
	global_load_b128 v[180:183], v246, s[8:9] offset:16
	s_wait_loadcnt 0x1
	v_mul_f64_e32 v[70:71], v[162:163], v[174:175]
	s_delay_alu instid0(VALU_DEP_1) | instskip(SKIP_1) | instid1(VALU_DEP_1)
	v_fma_f64 v[226:227], v[228:229], v[172:173], v[70:71]
	v_mul_f64_e32 v[70:71], v[228:229], v[174:175]
	v_fma_f64 v[228:229], v[162:163], v[172:173], -v[70:71]
	s_wait_dscnt 0x10
	v_mul_f64_e32 v[70:71], v[156:157], v[178:179]
	s_delay_alu instid0(VALU_DEP_1) | instskip(SKIP_1) | instid1(VALU_DEP_1)
	v_fma_f64 v[160:161], v[222:223], v[176:177], v[70:71]
	v_mul_f64_e32 v[70:71], v[222:223], v[178:179]
	v_fma_f64 v[162:163], v[156:157], v[176:177], -v[70:71]
	s_clause 0x1
	global_load_b128 v[172:175], v64, s[8:9] offset:32
	global_load_b128 v[176:179], v64, s[8:9] offset:48
	s_wait_loadcnt 0x2
	v_mul_f64_e32 v[70:71], v[158:159], v[182:183]
	s_delay_alu instid0(VALU_DEP_1) | instskip(SKIP_1) | instid1(VALU_DEP_1)
	v_fma_f64 v[196:197], v[224:225], v[180:181], v[70:71]
	v_mul_f64_e32 v[70:71], v[224:225], v[182:183]
	v_fma_f64 v[222:223], v[158:159], v[180:181], -v[70:71]
	s_wait_loadcnt_dscnt 0x10f
	v_mul_f64_e32 v[70:71], v[152:153], v[174:175]
	s_delay_alu instid0(VALU_DEP_1) | instskip(SKIP_1) | instid1(VALU_DEP_1)
	v_fma_f64 v[224:225], v[218:219], v[172:173], v[70:71]
	v_mul_f64_e32 v[70:71], v[218:219], v[174:175]
	v_fma_f64 v[156:157], v[152:153], v[172:173], -v[70:71]
	s_clause 0x1
	global_load_b128 v[172:175], v246, s[8:9] offset:32
	global_load_b128 v[180:183], v246, s[8:9] offset:48
	s_wait_loadcnt 0x1
	v_mul_f64_e32 v[70:71], v[154:155], v[174:175]
	s_delay_alu instid0(VALU_DEP_1) | instskip(SKIP_1) | instid1(VALU_DEP_1)
	v_fma_f64 v[192:193], v[220:221], v[172:173], v[70:71]
	v_mul_f64_e32 v[70:71], v[220:221], v[174:175]
	v_fma_f64 v[194:195], v[154:155], v[172:173], -v[70:71]
	s_wait_dscnt 0xe
	v_mul_f64_e32 v[70:71], v[148:149], v[178:179]
	s_delay_alu instid0(VALU_DEP_1) | instskip(SKIP_1) | instid1(VALU_DEP_1)
	v_fma_f64 v[220:221], v[214:215], v[176:177], v[70:71]
	v_mul_f64_e32 v[70:71], v[214:215], v[178:179]
	v_fma_f64 v[152:153], v[148:149], v[176:177], -v[70:71]
	s_clause 0x1
	global_load_b128 v[172:175], v64, s[8:9] offset:64
	global_load_b128 v[176:179], v64, s[8:9] offset:80
	s_wait_loadcnt 0x2
	v_mul_f64_e32 v[70:71], v[150:151], v[182:183]
	s_delay_alu instid0(VALU_DEP_1) | instskip(SKIP_1) | instid1(VALU_DEP_1)
	v_fma_f64 v[188:189], v[216:217], v[180:181], v[70:71]
	v_mul_f64_e32 v[70:71], v[216:217], v[182:183]
	v_fma_f64 v[180:181], v[150:151], v[180:181], -v[70:71]
	s_wait_loadcnt_dscnt 0x10d
	v_mul_f64_e32 v[70:71], v[144:145], v[174:175]
	s_delay_alu instid0(VALU_DEP_1) | instskip(SKIP_1) | instid1(VALU_DEP_1)
	v_fma_f64 v[216:217], v[210:211], v[172:173], v[70:71]
	v_mul_f64_e32 v[70:71], v[210:211], v[174:175]
	v_fma_f64 v[150:151], v[144:145], v[172:173], -v[70:71]
	s_clause 0x1
	global_load_b128 v[172:175], v246, s[8:9] offset:64
	global_load_b128 v[184:187], v246, s[8:9] offset:80
	s_wait_loadcnt 0x1
	v_mul_f64_e32 v[70:71], v[146:147], v[174:175]
	s_delay_alu instid0(VALU_DEP_1) | instskip(SKIP_2) | instid1(VALU_DEP_1)
	v_fma_f64 v[70:71], v[212:213], v[172:173], v[70:71]
	scratch_store_b64 off, v[70:71], off offset:592 ; 8-byte Folded Spill
	v_mul_f64_e32 v[70:71], v[212:213], v[174:175]
	v_fma_f64 v[214:215], v[146:147], v[172:173], -v[70:71]
	s_wait_dscnt 0xc
	v_mul_f64_e32 v[70:71], v[140:141], v[178:179]
	s_delay_alu instid0(VALU_DEP_1) | instskip(SKIP_1) | instid1(VALU_DEP_1)
	v_fma_f64 v[210:211], v[206:207], v[176:177], v[70:71]
	v_mul_f64_e32 v[70:71], v[206:207], v[178:179]
	v_fma_f64 v[144:145], v[140:141], v[176:177], -v[70:71]
	s_wait_loadcnt 0x0
	v_mul_f64_e32 v[70:71], v[142:143], v[186:187]
	s_delay_alu instid0(VALU_DEP_1) | instskip(SKIP_1) | instid1(VALU_DEP_1)
	v_fma_f64 v[172:173], v[208:209], v[184:185], v[70:71]
	v_mul_f64_e32 v[70:71], v[208:209], v[186:187]
	v_fma_f64 v[182:183], v[142:143], v[184:185], -v[70:71]
	s_clause 0x1
	global_load_b128 v[174:177], v64, s[8:9] offset:96
	global_load_b128 v[184:187], v64, s[8:9] offset:112
	s_wait_loadcnt_dscnt 0x10b
	v_mul_f64_e32 v[70:71], v[136:137], v[176:177]
	s_delay_alu instid0(VALU_DEP_1) | instskip(SKIP_1) | instid1(VALU_DEP_1)
	v_fma_f64 v[166:167], v[202:203], v[174:175], v[70:71]
	v_mul_f64_e32 v[70:71], v[202:203], v[176:177]
	v_fma_f64 v[140:141], v[136:137], v[174:175], -v[70:71]
	s_clause 0x1
	global_load_b128 v[174:177], v246, s[8:9] offset:96
	global_load_b128 v[206:209], v246, s[8:9] offset:112
	s_wait_loadcnt 0x1
	v_mul_f64_e32 v[70:71], v[138:139], v[176:177]
	s_delay_alu instid0(VALU_DEP_1) | instskip(SKIP_1) | instid1(VALU_DEP_1)
	v_fma_f64 v[178:179], v[204:205], v[174:175], v[70:71]
	v_mul_f64_e32 v[70:71], v[204:205], v[176:177]
	v_fma_f64 v[176:177], v[138:139], v[174:175], -v[70:71]
	s_wait_dscnt 0xa
	v_mul_f64_e32 v[70:71], v[132:133], v[186:187]
	s_delay_alu instid0(VALU_DEP_1) | instskip(SKIP_1) | instid1(VALU_DEP_1)
	v_fma_f64 v[218:219], v[198:199], v[184:185], v[70:71]
	v_mul_f64_e32 v[70:71], v[198:199], v[186:187]
	v_fma_f64 v[136:137], v[132:133], v[184:185], -v[70:71]
	s_wait_loadcnt 0x0
	v_mul_f64_e32 v[70:71], v[134:135], v[208:209]
	s_delay_alu instid0(VALU_DEP_1)
	v_fma_f64 v[148:149], v[200:201], v[206:207], v[70:71]
	v_mul_f64_e32 v[70:71], v[200:201], v[208:209]
	s_clause 0x1
	global_load_b128 v[184:187], v64, s[8:9] offset:128
	global_load_b128 v[198:201], v64, s[8:9] offset:144
	v_fma_f64 v[132:133], v[134:135], v[206:207], -v[70:71]
	s_wait_loadcnt_dscnt 0x109
	v_mul_f64_e32 v[70:71], v[128:129], v[186:187]
	s_delay_alu instid0(VALU_DEP_1) | instskip(SKIP_1) | instid1(VALU_DEP_1)
	v_fma_f64 v[208:209], v[72:73], v[184:185], v[70:71]
	v_mul_f64_e32 v[70:71], v[72:73], v[186:187]
	v_fma_f64 v[134:135], v[128:129], v[184:185], -v[70:71]
	s_clause 0x1
	global_load_b128 v[70:73], v246, s[8:9] offset:128
	global_load_b128 v[202:205], v246, s[8:9] offset:144
	s_wait_loadcnt 0x1
	v_mul_f64_e32 v[128:129], v[130:131], v[72:73]
	v_mul_f64_e32 v[72:73], v[74:75], v[72:73]
	s_delay_alu instid0(VALU_DEP_2) | instskip(NEXT) | instid1(VALU_DEP_2)
	v_fma_f64 v[174:175], v[74:75], v[70:71], v[128:129]
	v_fma_f64 v[70:71], v[130:131], v[70:71], -v[72:73]
	scratch_store_b64 off, v[70:71], off offset:600 ; 8-byte Folded Spill
	s_wait_dscnt 0x8
	v_mul_f64_e32 v[70:71], v[124:125], v[200:201]
	s_delay_alu instid0(VALU_DEP_1) | instskip(SKIP_1) | instid1(VALU_DEP_1)
	v_fma_f64 v[130:131], v[66:67], v[198:199], v[70:71]
	v_mul_f64_e32 v[65:66], v[66:67], v[200:201]
	v_fma_f64 v[128:129], v[124:125], v[198:199], -v[65:66]
	s_wait_loadcnt 0x0
	v_mul_f64_e32 v[65:66], v[126:127], v[204:205]
	s_delay_alu instid0(VALU_DEP_1) | instskip(SKIP_2) | instid1(VALU_DEP_1)
	v_fma_f64 v[65:66], v[68:69], v[202:203], v[65:66]
	scratch_store_b64 off, v[65:66], off offset:608 ; 8-byte Folded Spill
	v_mul_f64_e32 v[65:66], v[68:69], v[204:205]
	v_fma_f64 v[184:185], v[126:127], v[202:203], -v[65:66]
	s_clause 0x1
	global_load_b128 v[65:68], v64, s[8:9] offset:160
	global_load_b128 v[69:72], v64, s[8:9] offset:176
	s_wait_loadcnt_dscnt 0x107
	v_mul_f64_e32 v[73:74], v[120:121], v[67:68]
	s_delay_alu instid0(VALU_DEP_1) | instskip(SKIP_1) | instid1(VALU_DEP_1)
	v_fma_f64 v[125:126], v[56:57], v[65:66], v[73:74]
	v_mul_f64_e32 v[56:57], v[56:57], v[67:68]
	v_fma_f64 v[120:121], v[120:121], v[65:66], -v[56:57]
	s_clause 0x1
	global_load_b128 v[65:68], v246, s[8:9] offset:160
	global_load_b128 v[204:207], v246, s[8:9] offset:176
	v_add_f64_e64 v[250:251], v[144:145], -v[120:121]
	s_wait_alu 0xfffe
	s_delay_alu instid0(VALU_DEP_1) | instskip(SKIP_3) | instid1(VALU_DEP_1)
	v_mul_f64_e32 v[252:253], s[36:37], v[250:251]
	v_mul_f64_e32 v[254:255], s[50:51], v[250:251]
	s_wait_loadcnt 0x1
	v_mul_f64_e32 v[56:57], v[122:123], v[67:68]
	v_fma_f64 v[186:187], v[58:59], v[65:66], v[56:57]
	v_mul_f64_e32 v[58:59], v[58:59], v[67:68]
	s_delay_alu instid0(VALU_DEP_1) | instskip(SKIP_2) | instid1(VALU_DEP_1)
	v_fma_f64 v[58:59], v[122:123], v[65:66], -v[58:59]
	s_wait_dscnt 0x6
	v_mul_f64_e32 v[65:66], v[116:117], v[71:72]
	v_fma_f64 v[200:201], v[52:53], v[69:70], v[65:66]
	v_mul_f64_e32 v[52:53], v[52:53], v[71:72]
	s_delay_alu instid0(VALU_DEP_1)
	v_fma_f64 v[138:139], v[116:117], v[69:70], -v[52:53]
	s_clause 0x1
	global_load_b128 v[65:68], v64, s[8:9] offset:192
	global_load_b128 v[69:72], v64, s[8:9] offset:208
	s_wait_loadcnt 0x2
	v_mul_f64_e32 v[52:53], v[118:119], v[206:207]
	s_delay_alu instid0(VALU_DEP_1) | instskip(SKIP_2) | instid1(VALU_DEP_1)
	v_fma_f64 v[198:199], v[54:55], v[204:205], v[52:53]
	v_mul_f64_e32 v[54:55], v[54:55], v[206:207]
	v_and_b32_e32 v52, 0xff, v238
	v_mul_lo_u16 v52, v52, 37
	s_delay_alu instid0(VALU_DEP_1) | instskip(NEXT) | instid1(VALU_DEP_1)
	v_lshrrev_b16 v52, 8, v52
	v_sub_nc_u16 v53, v238, v52
	s_delay_alu instid0(VALU_DEP_1) | instskip(NEXT) | instid1(VALU_DEP_1)
	v_lshrrev_b16 v53, 1, v53
	v_and_b32_e32 v53, 0x7f, v53
	s_delay_alu instid0(VALU_DEP_1) | instskip(NEXT) | instid1(VALU_DEP_1)
	v_add_nc_u16 v52, v53, v52
	v_lshrrev_b16 v52, 2, v52
	v_fma_f64 v[54:55], v[118:119], v[204:205], -v[54:55]
	v_dual_mov_b32 v205, v169 :: v_dual_mov_b32 v204, v168
	s_delay_alu instid0(VALU_DEP_3) | instskip(NEXT) | instid1(VALU_DEP_1)
	v_mul_lo_u16 v52, v52, 7
	v_sub_nc_u16 v52, v238, v52
	s_wait_loadcnt_dscnt 0x105
	v_mul_f64_e32 v[73:74], v[112:113], v[67:68]
	s_delay_alu instid0(VALU_DEP_1) | instskip(SKIP_1) | instid1(VALU_DEP_1)
	v_fma_f64 v[212:213], v[48:49], v[65:66], v[73:74]
	v_mul_f64_e32 v[48:49], v[48:49], v[67:68]
	v_fma_f64 v[112:113], v[112:113], v[65:66], -v[48:49]
	s_clause 0x1
	global_load_b128 v[65:68], v246, s[8:9] offset:192
	global_load_b128 v[116:119], v246, s[8:9] offset:208
	s_wait_loadcnt 0x1
	v_mul_f64_e32 v[48:49], v[114:115], v[67:68]
	s_delay_alu instid0(VALU_DEP_1) | instskip(SKIP_1) | instid1(VALU_DEP_1)
	v_fma_f64 v[48:49], v[50:51], v[65:66], v[48:49]
	v_mul_f64_e32 v[50:51], v[50:51], v[67:68]
	v_fma_f64 v[50:51], v[114:115], v[65:66], -v[50:51]
	s_wait_dscnt 0x4
	v_mul_f64_e32 v[65:66], v[108:109], v[71:72]
	s_delay_alu instid0(VALU_DEP_1) | instskip(SKIP_1) | instid1(VALU_DEP_1)
	v_fma_f64 v[206:207], v[44:45], v[69:70], v[65:66]
	v_mul_f64_e32 v[44:45], v[44:45], v[71:72]
	v_fma_f64 v[114:115], v[108:109], v[69:70], -v[44:45]
	s_clause 0x1
	global_load_b128 v[65:68], v64, s[8:9] offset:224
	global_load_b128 v[69:72], v64, s[8:9] offset:240
	s_wait_loadcnt 0x2
	v_mul_f64_e32 v[44:45], v[110:111], v[118:119]
	s_delay_alu instid0(VALU_DEP_1) | instskip(SKIP_1) | instid1(VALU_DEP_1)
	v_fma_f64 v[44:45], v[46:47], v[116:117], v[44:45]
	v_mul_f64_e32 v[46:47], v[46:47], v[118:119]
	v_fma_f64 v[46:47], v[110:111], v[116:117], -v[46:47]
	s_wait_loadcnt_dscnt 0x103
	v_mul_f64_e32 v[73:74], v[104:105], v[67:68]
	s_delay_alu instid0(VALU_DEP_1) | instskip(SKIP_1) | instid1(VALU_DEP_1)
	v_fma_f64 v[202:203], v[40:41], v[65:66], v[73:74]
	v_mul_f64_e32 v[40:41], v[40:41], v[67:68]
	v_fma_f64 v[104:105], v[104:105], v[65:66], -v[40:41]
	s_clause 0x1
	global_load_b128 v[64:67], v246, s[8:9] offset:224
	global_load_b128 v[108:111], v246, s[8:9] offset:240
	s_wait_loadcnt 0x1
	v_mul_f64_e32 v[40:41], v[106:107], v[66:67]
	s_delay_alu instid0(VALU_DEP_1)
	v_fma_f64 v[40:41], v[42:43], v[64:65], v[40:41]
	v_mul_f64_e32 v[42:43], v[42:43], v[66:67]
	scratch_store_b64 off, v[40:41], off offset:616 ; 8-byte Folded Spill
	v_fma_f64 v[123:124], v[106:107], v[64:65], -v[42:43]
	s_wait_dscnt 0x2
	v_mul_f64_e32 v[64:65], v[100:101], v[71:72]
	s_delay_alu instid0(VALU_DEP_1) | instskip(SKIP_1) | instid1(VALU_DEP_1)
	v_fma_f64 v[42:43], v[36:37], v[69:70], v[64:65]
	v_mul_f64_e32 v[36:37], v[36:37], v[71:72]
	v_fma_f64 v[106:107], v[100:101], v[69:70], -v[36:37]
	s_wait_loadcnt 0x0
	v_mul_f64_e32 v[36:37], v[102:103], v[110:111]
	v_and_b32_e32 v100, 0xff, v52
	s_delay_alu instid0(VALU_DEP_2) | instskip(NEXT) | instid1(VALU_DEP_2)
	v_fma_f64 v[40:41], v[38:39], v[108:109], v[36:37]
	v_lshlrev_b32_e32 v52, 8, v100
	s_clause 0x1
	global_load_b128 v[64:67], v52, s[8:9] offset:16
	global_load_b128 v[68:71], v52, s[8:9]
	v_mul_f64_e32 v[38:39], v[38:39], v[110:111]
	s_delay_alu instid0(VALU_DEP_1) | instskip(SKIP_4) | instid1(VALU_DEP_1)
	v_fma_f64 v[36:37], v[102:103], v[108:109], -v[38:39]
	v_dual_mov_b32 v38, v160 :: v_dual_lshlrev_b32 v53, 3, v171
	v_mov_b32_e32 v39, v161
	s_wait_loadcnt 0x1
	v_mul_f64_e32 v[72:73], v[96:97], v[66:67]
	v_fma_f64 v[56:57], v[32:33], v[64:65], v[72:73]
	v_mul_f64_e32 v[32:33], v[32:33], v[66:67]
	s_delay_alu instid0(VALU_DEP_1)
	v_fma_f64 v[32:33], v[96:97], v[64:65], -v[32:33]
	s_clause 0x1
	scratch_store_b64 off, v[56:57], off offset:144
	scratch_store_b64 off, v[32:33], off offset:128
	s_clause 0x1
	global_load_b128 v[64:67], v52, s[8:9] offset:32
	global_load_b128 v[72:75], v52, s[8:9] offset:48
	s_wait_loadcnt 0x1
	v_mul_f64_e32 v[32:33], v[98:99], v[66:67]
	s_delay_alu instid0(VALU_DEP_1) | instskip(SKIP_2) | instid1(VALU_DEP_1)
	v_fma_f64 v[32:33], v[34:35], v[64:65], v[32:33]
	scratch_store_b64 off, v[32:33], off offset:152 ; 8-byte Folded Spill
	v_mul_f64_e32 v[32:33], v[34:35], v[66:67]
	v_fma_f64 v[32:33], v[98:99], v[64:65], -v[32:33]
	scratch_store_b64 off, v[32:33], off offset:112 ; 8-byte Folded Spill
	s_wait_loadcnt 0x0
	v_mul_f64_e32 v[32:33], v[92:93], v[74:75]
	s_delay_alu instid0(VALU_DEP_1) | instskip(SKIP_1) | instid1(VALU_DEP_1)
	v_fma_f64 v[32:33], v[28:29], v[72:73], v[32:33]
	v_mul_f64_e32 v[28:29], v[28:29], v[74:75]
	v_fma_f64 v[28:29], v[92:93], v[72:73], -v[28:29]
	s_clause 0x1
	scratch_store_b64 off, v[32:33], off offset:160
	scratch_store_b64 off, v[28:29], off offset:88
	s_clause 0x1
	global_load_b128 v[32:35], v52, s[8:9] offset:64
	global_load_b128 v[64:67], v52, s[8:9] offset:80
	s_wait_loadcnt 0x1
	v_mul_f64_e32 v[28:29], v[94:95], v[34:35]
	s_delay_alu instid0(VALU_DEP_1) | instskip(SKIP_2) | instid1(VALU_DEP_1)
	v_fma_f64 v[28:29], v[30:31], v[32:33], v[28:29]
	scratch_store_b64 off, v[28:29], off offset:168 ; 8-byte Folded Spill
	v_mul_f64_e32 v[28:29], v[30:31], v[34:35]
	v_fma_f64 v[28:29], v[94:95], v[32:33], -v[28:29]
	scratch_store_b64 off, v[28:29], off offset:64 ; 8-byte Folded Spill
	s_wait_loadcnt 0x0
	v_mul_f64_e32 v[28:29], v[88:89], v[66:67]
	s_delay_alu instid0(VALU_DEP_1) | instskip(SKIP_1) | instid1(VALU_DEP_1)
	v_fma_f64 v[28:29], v[24:25], v[64:65], v[28:29]
	v_mul_f64_e32 v[24:25], v[24:25], v[66:67]
	;; [unrolled: 20-line block ×5, first 2 shown]
	v_fma_f64 v[12:13], v[76:77], v[24:25], -v[12:13]
	s_clause 0x1
	scratch_store_b64 off, v[16:17], off offset:224
	scratch_store_b64 off, v[12:13], off offset:56
	s_clause 0x1
	global_load_b128 v[16:19], v52, s[8:9] offset:192
	global_load_b128 v[20:23], v52, s[8:9] offset:208
	s_wait_loadcnt 0x1
	v_mul_f64_e32 v[12:13], v[78:79], v[18:19]
	s_delay_alu instid0(VALU_DEP_1) | instskip(SKIP_2) | instid1(VALU_DEP_1)
	v_fma_f64 v[12:13], v[14:15], v[16:17], v[12:13]
	scratch_store_b64 off, v[12:13], off offset:232 ; 8-byte Folded Spill
	v_mul_f64_e32 v[12:13], v[14:15], v[18:19]
	v_fma_f64 v[12:13], v[78:79], v[16:17], -v[12:13]
	scratch_store_b64 off, v[12:13], off offset:48 ; 8-byte Folded Spill
	s_wait_loadcnt_dscnt 0x1
	v_mul_f64_e32 v[12:13], v[60:61], v[22:23]
	s_delay_alu instid0(VALU_DEP_1) | instskip(SKIP_1) | instid1(VALU_DEP_1)
	v_fma_f64 v[12:13], v[8:9], v[20:21], v[12:13]
	v_mul_f64_e32 v[8:9], v[8:9], v[22:23]
	v_fma_f64 v[8:9], v[60:61], v[20:21], -v[8:9]
	s_clause 0x1
	scratch_store_b64 off, v[12:13], off offset:240
	scratch_store_b64 off, v[8:9], off offset:40
	s_clause 0x1
	global_load_b128 v[12:15], v52, s[8:9] offset:224
	global_load_b128 v[16:19], v52, s[8:9] offset:240
	v_and_b32_e32 v52, 0xffff, v170
	s_delay_alu instid0(VALU_DEP_1) | instskip(SKIP_2) | instid1(VALU_DEP_1)
	v_mad_u32_u24 v52, 0x3b8, v52, 0
	s_wait_loadcnt 0x1
	v_mul_f64_e32 v[8:9], v[62:63], v[14:15]
	v_fma_f64 v[8:9], v[10:11], v[12:13], v[8:9]
	scratch_store_b64 off, v[8:9], off offset:248 ; 8-byte Folded Spill
	v_mul_f64_e32 v[8:9], v[10:11], v[14:15]
	s_delay_alu instid0(VALU_DEP_1)
	v_fma_f64 v[8:9], v[62:63], v[12:13], -v[8:9]
	v_add_f64_e64 v[12:13], v[162:163], -v[104:105]
	scratch_store_b64 off, v[8:9], off offset:32 ; 8-byte Folded Spill
	s_wait_loadcnt_dscnt 0x0
	v_mul_f64_e32 v[8:9], v[244:245], v[18:19]
	v_mul_f64_e32 v[14:15], s[12:13], v[12:13]
	;; [unrolled: 1-line block ×5, first 2 shown]
	v_fma_f64 v[8:9], v[242:243], v[16:17], v[8:9]
	scratch_store_b64 off, v[8:9], off offset:264 ; 8-byte Folded Spill
	v_mul_f64_e32 v[8:9], v[242:243], v[18:19]
	v_add_f64_e64 v[242:243], v[150:151], -v[138:139]
	s_delay_alu instid0(VALU_DEP_2) | instskip(NEXT) | instid1(VALU_DEP_2)
	v_fma_f64 v[8:9], v[244:245], v[16:17], -v[8:9]
	v_mul_f64_e32 v[244:245], s[44:45], v[242:243]
	scratch_store_b64 off, v[8:9], off offset:24 ; 8-byte Folded Spill
	v_mul_f64_e32 v[8:9], v[2:3], v[70:71]
	s_delay_alu instid0(VALU_DEP_1) | instskip(SKIP_1) | instid1(VALU_DEP_1)
	v_fma_f64 v[8:9], v[6:7], v[68:69], v[8:9]
	v_mul_f64_e32 v[6:7], v[6:7], v[70:71]
	v_fma_f64 v[2:3], v[2:3], v[68:69], -v[6:7]
	v_add_f64_e64 v[6:7], v[247:248], -v[106:107]
	s_clause 0x1
	scratch_store_b64 off, v[8:9], off offset:272
	scratch_store_b64 off, v[2:3], off offset:256
	v_add_f64_e32 v[2:3], v[168:169], v[42:43]
	v_mul_f64_e32 v[8:9], s[4:5], v[6:7]
	s_clause 0x1
	scratch_store_b64 off, v[247:248], off offset:544
	scratch_store_b64 off, v[106:107], off offset:584
	v_mul_f64_e32 v[246:247], s[46:47], v[242:243]
	v_add_f64_e32 v[248:249], v[210:211], v[125:126]
	s_clause 0xd
	scratch_store_b64 off, v[162:163], off offset:536
	scratch_store_b64 off, v[104:105], off offset:576
	;; [unrolled: 1-line block ×14, first 2 shown]
	scratch_load_b32 v127, off, off offset:20 ; 4-byte Folded Reload
	global_wb scope:SCOPE_SE
	s_wait_loadcnt 0x0
	s_wait_storecnt 0x0
	s_barrier_signal -1
	s_barrier_wait -1
	global_inv scope:SCOPE_SE
	s_clause 0x5
	scratch_store_b64 off, v[166:167], off offset:440
	scratch_store_b64 off, v[218:219], off offset:424
	;; [unrolled: 1-line block ×6, first 2 shown]
	v_fma_f64 v[10:11], v[2:3], s[10:11], v[8:9]
	v_fma_f64 v[8:9], v[2:3], s[10:11], -v[8:9]
	s_delay_alu instid0(VALU_DEP_2) | instskip(SKIP_1) | instid1(VALU_DEP_3)
	v_add_f64_e32 v[16:17], v[240:241], v[10:11]
	v_add_f64_e32 v[10:11], v[160:161], v[202:203]
	v_add_f64_e32 v[8:9], v[240:241], v[8:9]
	s_delay_alu instid0(VALU_DEP_2) | instskip(SKIP_3) | instid1(VALU_DEP_4)
	v_fma_f64 v[18:19], v[10:11], s[14:15], v[14:15]
	v_fma_f64 v[90:91], v[10:11], s[30:31], v[170:171]
	;; [unrolled: 1-line block ×3, first 2 shown]
	v_fma_f64 v[14:15], v[10:11], s[14:15], -v[14:15]
	v_add_f64_e32 v[26:27], v[18:19], v[16:17]
	v_mul_f64_e32 v[16:17], s[18:19], v[6:7]
	s_delay_alu instid0(VALU_DEP_3) | instskip(NEXT) | instid1(VALU_DEP_2)
	v_add_f64_e32 v[8:9], v[14:15], v[8:9]
	v_fma_f64 v[18:19], v[2:3], s[20:21], v[16:17]
	v_fma_f64 v[14:15], v[2:3], s[20:21], -v[16:17]
	s_delay_alu instid0(VALU_DEP_2) | instskip(SKIP_1) | instid1(VALU_DEP_3)
	v_add_f64_e32 v[20:21], v[240:241], v[18:19]
	v_mul_f64_e32 v[18:19], s[22:23], v[12:13]
	v_add_f64_e32 v[14:15], v[240:241], v[14:15]
	s_delay_alu instid0(VALU_DEP_2) | instskip(SKIP_1) | instid1(VALU_DEP_2)
	v_fma_f64 v[22:23], v[10:11], s[24:25], v[18:19]
	v_fma_f64 v[16:17], v[10:11], s[24:25], -v[18:19]
	v_add_f64_e32 v[28:29], v[22:23], v[20:21]
	v_add_f64_e64 v[22:23], v[156:157], -v[114:115]
	v_add_f64_e32 v[20:21], v[224:225], v[206:207]
	s_delay_alu instid0(VALU_DEP_4) | instskip(NEXT) | instid1(VALU_DEP_3)
	v_add_f64_e32 v[14:15], v[16:17], v[14:15]
	v_mul_f64_e32 v[24:25], s[22:23], v[22:23]
	s_delay_alu instid0(VALU_DEP_1) | instskip(SKIP_1) | instid1(VALU_DEP_2)
	v_fma_f64 v[30:31], v[20:21], s[24:25], v[24:25]
	v_fma_f64 v[16:17], v[20:21], s[24:25], -v[24:25]
	v_add_f64_e32 v[34:35], v[30:31], v[26:27]
	v_mul_f64_e32 v[26:27], s[28:29], v[22:23]
	s_delay_alu instid0(VALU_DEP_3) | instskip(NEXT) | instid1(VALU_DEP_2)
	v_add_f64_e32 v[8:9], v[16:17], v[8:9]
	v_fma_f64 v[30:31], v[20:21], s[30:31], v[26:27]
	v_fma_f64 v[16:17], v[20:21], s[30:31], -v[26:27]
	s_delay_alu instid0(VALU_DEP_2) | instskip(SKIP_2) | instid1(VALU_DEP_4)
	v_add_f64_e32 v[60:61], v[30:31], v[28:29]
	v_add_f64_e64 v[30:31], v[152:153], -v[112:113]
	v_add_f64_e32 v[28:29], v[220:221], v[212:213]
	v_add_f64_e32 v[14:15], v[16:17], v[14:15]
	s_delay_alu instid0(VALU_DEP_3) | instskip(NEXT) | instid1(VALU_DEP_1)
	v_mul_f64_e32 v[32:33], s[26:27], v[30:31]
	v_fma_f64 v[62:63], v[28:29], s[30:31], v[32:33]
	v_fma_f64 v[16:17], v[28:29], s[30:31], -v[32:33]
	s_delay_alu instid0(VALU_DEP_2) | instskip(SKIP_1) | instid1(VALU_DEP_3)
	v_add_f64_e32 v[62:63], v[62:63], v[34:35]
	v_mul_f64_e32 v[34:35], s[36:37], v[30:31]
	v_add_f64_e32 v[8:9], v[16:17], v[8:9]
	s_delay_alu instid0(VALU_DEP_2) | instskip(SKIP_1) | instid1(VALU_DEP_2)
	v_fma_f64 v[64:65], v[28:29], s[38:39], v[34:35]
	v_fma_f64 v[16:17], v[28:29], s[38:39], -v[34:35]
	v_add_f64_e32 v[64:65], v[64:65], v[60:61]
	v_add_f64_e32 v[60:61], v[216:217], v[200:201]
	s_delay_alu instid0(VALU_DEP_3) | instskip(NEXT) | instid1(VALU_DEP_2)
	v_add_f64_e32 v[14:15], v[16:17], v[14:15]
	v_fma_f64 v[66:67], v[60:61], s[42:43], v[244:245]
	v_fma_f64 v[16:17], v[60:61], s[42:43], -v[244:245]
	s_delay_alu instid0(VALU_DEP_2) | instskip(SKIP_1) | instid1(VALU_DEP_3)
	v_add_f64_e32 v[62:63], v[66:67], v[62:63]
	v_fma_f64 v[66:67], v[60:61], s[10:11], v[246:247]
	v_add_f64_e32 v[8:9], v[16:17], v[8:9]
	v_fma_f64 v[16:17], v[60:61], s[10:11], -v[246:247]
	s_delay_alu instid0(VALU_DEP_3) | instskip(SKIP_1) | instid1(VALU_DEP_3)
	v_add_f64_e32 v[64:65], v[66:67], v[64:65]
	v_fma_f64 v[66:67], v[248:249], s[38:39], v[252:253]
	v_add_f64_e32 v[14:15], v[16:17], v[14:15]
	v_fma_f64 v[16:17], v[248:249], s[38:39], -v[252:253]
	s_delay_alu instid0(VALU_DEP_3) | instskip(SKIP_1) | instid1(VALU_DEP_3)
	v_add_f64_e32 v[68:69], v[66:67], v[62:63]
	v_fma_f64 v[62:63], v[248:249], s[52:53], v[254:255]
	v_add_f64_e32 v[8:9], v[16:17], v[8:9]
	v_fma_f64 v[16:17], v[248:249], s[52:53], -v[254:255]
	s_delay_alu instid0(VALU_DEP_3) | instskip(SKIP_2) | instid1(VALU_DEP_4)
	v_add_f64_e32 v[70:71], v[62:63], v[64:65]
	v_add_f64_e64 v[64:65], v[140:141], -v[128:129]
	v_add_f64_e32 v[62:63], v[166:167], v[130:131]
	v_add_f64_e32 v[14:15], v[16:17], v[14:15]
	s_delay_alu instid0(VALU_DEP_3) | instskip(NEXT) | instid1(VALU_DEP_1)
	v_mul_f64_e32 v[66:67], s[48:49], v[64:65]
	v_fma_f64 v[72:73], v[62:63], s[20:21], v[66:67]
	v_fma_f64 v[16:17], v[62:63], s[20:21], -v[66:67]
	v_add_f64_e64 v[66:67], v[214:215], -v[54:55]
	s_delay_alu instid0(VALU_DEP_3) | instskip(SKIP_1) | instid1(VALU_DEP_4)
	v_add_f64_e32 v[80:81], v[72:73], v[68:69]
	v_mul_f64_e32 v[68:69], s[12:13], v[64:65]
	v_add_f64_e32 v[8:9], v[16:17], v[8:9]
	s_delay_alu instid0(VALU_DEP_2) | instskip(SKIP_1) | instid1(VALU_DEP_2)
	v_fma_f64 v[72:73], v[62:63], s[14:15], v[68:69]
	v_fma_f64 v[16:17], v[62:63], s[14:15], -v[68:69]
	v_add_f64_e32 v[88:89], v[72:73], v[70:71]
	v_add_f64_e64 v[72:73], v[136:137], -v[134:135]
	v_add_f64_e32 v[70:71], v[218:219], v[208:209]
	v_fma_f64 v[134:135], v[10:11], s[20:21], v[84:85]
	v_add_f64_e32 v[14:15], v[16:17], v[14:15]
	v_fma_f64 v[84:85], v[10:11], s[20:21], -v[84:85]
	v_mul_f64_e32 v[74:75], s[54:55], v[72:73]
	s_delay_alu instid0(VALU_DEP_1) | instskip(SKIP_1) | instid1(VALU_DEP_2)
	v_fma_f64 v[92:93], v[70:71], s[52:53], v[74:75]
	v_fma_f64 v[16:17], v[70:71], s[52:53], -v[74:75]
	v_add_f64_e32 v[92:93], v[92:93], v[80:81]
	v_mul_f64_e32 v[80:81], s[40:41], v[72:73]
	s_delay_alu instid0(VALU_DEP_3) | instskip(NEXT) | instid1(VALU_DEP_2)
	v_add_f64_e32 v[8:9], v[16:17], v[8:9]
	v_fma_f64 v[96:97], v[70:71], s[42:43], v[80:81]
	v_fma_f64 v[16:17], v[70:71], s[42:43], -v[80:81]
	s_delay_alu instid0(VALU_DEP_2) | instskip(SKIP_1) | instid1(VALU_DEP_3)
	v_add_f64_e32 v[88:89], v[96:97], v[88:89]
	v_add3_u32 v96, v52, v53, v127
	v_add_f64_e32 v[14:15], v[16:17], v[14:15]
	ds_store_2addr_b64 v96, v[92:93], v[88:89] offset0:14 offset1:21
	v_mul_f64_e32 v[88:89], s[12:13], v[6:7]
	ds_store_2addr_b64 v96, v[14:15], v[8:9] offset0:98 offset1:105
	v_mul_f64_e32 v[8:9], s[4:5], v[12:13]
	v_fma_f64 v[92:93], v[2:3], s[14:15], v[88:89]
	s_delay_alu instid0(VALU_DEP_2) | instskip(NEXT) | instid1(VALU_DEP_2)
	v_fma_f64 v[14:15], v[10:11], s[10:11], v[8:9]
	v_add_f64_e32 v[92:93], v[240:241], v[92:93]
	s_delay_alu instid0(VALU_DEP_1) | instskip(SKIP_1) | instid1(VALU_DEP_1)
	v_add_f64_e32 v[90:91], v[90:91], v[92:93]
	v_mul_f64_e32 v[92:93], s[34:35], v[6:7]
	v_fma_f64 v[86:87], v[2:3], s[38:39], v[92:93]
	s_delay_alu instid0(VALU_DEP_1) | instskip(NEXT) | instid1(VALU_DEP_1)
	v_add_f64_e32 v[86:87], v[240:241], v[86:87]
	v_add_f64_e32 v[86:87], v[103:104], v[86:87]
	v_mul_f64_e32 v[103:104], s[36:37], v[22:23]
	s_delay_alu instid0(VALU_DEP_1) | instskip(NEXT) | instid1(VALU_DEP_1)
	v_fma_f64 v[97:98], v[20:21], s[38:39], v[103:104]
	v_add_f64_e32 v[90:91], v[97:98], v[90:91]
	v_mul_f64_e32 v[97:98], s[46:47], v[22:23]
	s_delay_alu instid0(VALU_DEP_1) | instskip(NEXT) | instid1(VALU_DEP_1)
	v_fma_f64 v[105:106], v[20:21], s[10:11], v[97:98]
	;; [unrolled: 4-line block ×11, first 2 shown]
	v_add_f64_e32 v[78:79], v[78:79], v[82:83]
	v_mul_f64_e32 v[82:83], s[22:23], v[72:73]
	s_delay_alu instid0(VALU_DEP_1) | instskip(SKIP_1) | instid1(VALU_DEP_2)
	v_fma_f64 v[117:118], v[70:71], s[24:25], v[82:83]
	v_fma_f64 v[82:83], v[70:71], s[24:25], -v[82:83]
	v_add_f64_e32 v[76:77], v[117:118], v[76:77]
	v_mul_f64_e32 v[117:118], s[36:37], v[12:13]
	ds_store_2addr_b64 v96, v[78:79], v[76:77] offset0:28 offset1:35
	v_mul_f64_e32 v[76:77], s[22:23], v[6:7]
	v_fma_f64 v[119:120], v[10:11], s[38:39], v[117:118]
	s_delay_alu instid0(VALU_DEP_2) | instskip(SKIP_1) | instid1(VALU_DEP_2)
	v_fma_f64 v[78:79], v[2:3], s[24:25], v[76:77]
	v_fma_f64 v[76:77], v[2:3], s[24:25], -v[76:77]
	v_add_f64_e32 v[78:79], v[240:241], v[78:79]
	s_delay_alu instid0(VALU_DEP_2) | instskip(NEXT) | instid1(VALU_DEP_2)
	v_add_f64_e32 v[76:77], v[240:241], v[76:77]
	v_add_f64_e32 v[78:79], v[119:120], v[78:79]
	v_mul_f64_e32 v[119:120], s[40:41], v[6:7]
	s_delay_alu instid0(VALU_DEP_1) | instskip(NEXT) | instid1(VALU_DEP_1)
	v_fma_f64 v[121:122], v[2:3], s[42:43], v[119:120]
	v_add_f64_e32 v[121:122], v[240:241], v[121:122]
	s_delay_alu instid0(VALU_DEP_1) | instskip(SKIP_1) | instid1(VALU_DEP_1)
	v_add_f64_e32 v[121:122], v[134:135], v[121:122]
	v_mul_f64_e32 v[134:135], s[50:51], v[22:23]
	v_fma_f64 v[150:151], v[20:21], s[52:53], v[134:135]
	s_delay_alu instid0(VALU_DEP_1) | instskip(SKIP_1) | instid1(VALU_DEP_1)
	v_add_f64_e32 v[78:79], v[150:151], v[78:79]
	v_mul_f64_e32 v[150:151], s[12:13], v[22:23]
	v_fma_f64 v[136:137], v[20:21], s[14:15], v[150:151]
	;; [unrolled: 4-line block ×12, first 2 shown]
	s_delay_alu instid0(VALU_DEP_1)
	v_add_f64_e32 v[121:122], v[162:163], v[121:122]
	v_mul_f64_e32 v[162:163], s[54:55], v[12:13]
	ds_store_2addr_b64 v96, v[78:79], v[121:122] offset0:42 offset1:49
	v_mul_f64_e32 v[78:79], s[26:27], v[6:7]
	v_fma_f64 v[128:129], v[10:11], s[52:53], v[162:163]
	v_mul_f64_e32 v[6:7], s[50:51], v[6:7]
	s_delay_alu instid0(VALU_DEP_3) | instskip(SKIP_1) | instid1(VALU_DEP_3)
	v_fma_f64 v[121:122], v[2:3], s[30:31], v[78:79]
	v_fma_f64 v[78:79], v[2:3], s[30:31], -v[78:79]
	v_fma_f64 v[12:13], v[2:3], s[52:53], v[6:7]
	s_delay_alu instid0(VALU_DEP_3) | instskip(NEXT) | instid1(VALU_DEP_3)
	v_add_f64_e32 v[121:122], v[240:241], v[121:122]
	v_add_f64_e32 v[78:79], v[240:241], v[78:79]
	s_delay_alu instid0(VALU_DEP_3) | instskip(NEXT) | instid1(VALU_DEP_3)
	v_add_f64_e32 v[12:13], v[240:241], v[12:13]
	v_add_f64_e32 v[121:122], v[128:129], v[121:122]
	v_fma_f64 v[128:129], v[10:11], s[52:53], -v[162:163]
	s_delay_alu instid0(VALU_DEP_3) | instskip(SKIP_1) | instid1(VALU_DEP_3)
	v_add_f64_e32 v[12:13], v[14:15], v[12:13]
	v_mul_f64_e32 v[14:15], s[18:19], v[22:23]
	v_add_f64_e32 v[78:79], v[128:129], v[78:79]
	v_mul_f64_e32 v[128:129], s[40:41], v[22:23]
	s_delay_alu instid0(VALU_DEP_3) | instskip(NEXT) | instid1(VALU_DEP_2)
	v_fma_f64 v[16:17], v[20:21], s[20:21], v[14:15]
	v_fma_f64 v[162:163], v[20:21], s[42:43], v[128:129]
	v_fma_f64 v[128:129], v[20:21], s[42:43], -v[128:129]
	s_delay_alu instid0(VALU_DEP_3) | instskip(SKIP_1) | instid1(VALU_DEP_4)
	v_add_f64_e32 v[12:13], v[16:17], v[12:13]
	v_mul_f64_e32 v[16:17], s[12:13], v[30:31]
	v_add_f64_e32 v[121:122], v[162:163], v[121:122]
	s_delay_alu instid0(VALU_DEP_4) | instskip(SKIP_1) | instid1(VALU_DEP_4)
	v_add_f64_e32 v[78:79], v[128:129], v[78:79]
	v_mul_f64_e32 v[128:129], s[46:47], v[30:31]
	v_fma_f64 v[18:19], v[28:29], s[14:15], v[16:17]
	v_fma_f64 v[16:17], v[28:29], s[14:15], -v[16:17]
	s_delay_alu instid0(VALU_DEP_3) | instskip(SKIP_1) | instid1(VALU_DEP_4)
	v_fma_f64 v[162:163], v[28:29], s[10:11], v[128:129]
	v_fma_f64 v[128:129], v[28:29], s[10:11], -v[128:129]
	v_add_f64_e32 v[12:13], v[18:19], v[12:13]
	v_mul_f64_e32 v[18:19], s[34:35], v[242:243]
	s_delay_alu instid0(VALU_DEP_4) | instskip(NEXT) | instid1(VALU_DEP_4)
	v_add_f64_e32 v[121:122], v[162:163], v[121:122]
	v_add_f64_e32 v[78:79], v[128:129], v[78:79]
	v_mul_f64_e32 v[128:129], s[22:23], v[242:243]
	s_delay_alu instid0(VALU_DEP_4) | instskip(NEXT) | instid1(VALU_DEP_2)
	v_fma_f64 v[22:23], v[60:61], s[38:39], v[18:19]
	v_fma_f64 v[162:163], v[60:61], s[24:25], v[128:129]
	v_fma_f64 v[128:129], v[60:61], s[24:25], -v[128:129]
	s_delay_alu instid0(VALU_DEP_3) | instskip(SKIP_1) | instid1(VALU_DEP_4)
	v_add_f64_e32 v[12:13], v[22:23], v[12:13]
	v_mul_f64_e32 v[22:23], s[22:23], v[250:251]
	v_add_f64_e32 v[121:122], v[162:163], v[121:122]
	s_delay_alu instid0(VALU_DEP_4) | instskip(SKIP_1) | instid1(VALU_DEP_4)
	v_add_f64_e32 v[78:79], v[128:129], v[78:79]
	v_mul_f64_e32 v[128:129], s[48:49], v[250:251]
	v_fma_f64 v[24:25], v[248:249], s[24:25], v[22:23]
	s_delay_alu instid0(VALU_DEP_2) | instskip(SKIP_1) | instid1(VALU_DEP_3)
	v_fma_f64 v[162:163], v[248:249], s[20:21], v[128:129]
	v_fma_f64 v[128:129], v[248:249], s[20:21], -v[128:129]
	v_add_f64_e32 v[12:13], v[24:25], v[12:13]
	v_mul_f64_e32 v[24:25], s[40:41], v[64:65]
	s_delay_alu instid0(VALU_DEP_4) | instskip(NEXT) | instid1(VALU_DEP_4)
	v_add_f64_e32 v[121:122], v[162:163], v[121:122]
	v_add_f64_e32 v[78:79], v[128:129], v[78:79]
	v_mul_f64_e32 v[128:129], s[34:35], v[64:65]
	s_delay_alu instid0(VALU_DEP_4) | instskip(SKIP_1) | instid1(VALU_DEP_3)
	v_fma_f64 v[26:27], v[62:63], s[42:43], v[24:25]
	v_add_f64_e64 v[64:65], v[180:181], -v[50:51]
	v_fma_f64 v[162:163], v[62:63], s[38:39], v[128:129]
	v_fma_f64 v[128:129], v[62:63], s[38:39], -v[128:129]
	s_delay_alu instid0(VALU_DEP_4) | instskip(SKIP_1) | instid1(VALU_DEP_4)
	v_add_f64_e32 v[12:13], v[26:27], v[12:13]
	v_mul_f64_e32 v[26:27], s[26:27], v[72:73]
	v_add_f64_e32 v[121:122], v[162:163], v[121:122]
	s_delay_alu instid0(VALU_DEP_4) | instskip(SKIP_1) | instid1(VALU_DEP_4)
	v_add_f64_e32 v[78:79], v[128:129], v[78:79]
	v_mul_f64_e32 v[128:129], s[56:57], v[72:73]
	v_fma_f64 v[30:31], v[70:71], s[30:31], v[26:27]
	v_fma_f64 v[32:33], v[70:71], s[30:31], -v[26:27]
	s_delay_alu instid0(VALU_DEP_3) | instskip(SKIP_1) | instid1(VALU_DEP_4)
	v_fma_f64 v[162:163], v[70:71], s[14:15], v[128:129]
	v_fma_f64 v[128:129], v[70:71], s[14:15], -v[128:129]
	v_add_f64_e32 v[12:13], v[30:31], v[12:13]
	v_add_f64_e32 v[30:31], v[240:241], v[168:169]
	s_delay_alu instid0(VALU_DEP_4) | instskip(NEXT) | instid1(VALU_DEP_4)
	v_add_f64_e32 v[121:122], v[162:163], v[121:122]
	v_add_f64_e32 v[78:79], v[128:129], v[78:79]
	s_delay_alu instid0(VALU_DEP_3)
	v_add_f64_e32 v[30:31], v[30:31], v[160:161]
	v_dual_mov_b32 v161, v131 :: v_dual_mov_b32 v160, v130
	ds_store_2addr_b64 v96, v[121:122], v[78:79] offset0:56 offset1:63
	v_fma_f64 v[78:79], v[10:11], s[38:39], -v[117:118]
	v_add_f64_e32 v[30:31], v[30:31], v[224:225]
	v_dual_mov_b32 v225, v221 :: v_dual_mov_b32 v224, v220
	s_delay_alu instid0(VALU_DEP_3) | instskip(SKIP_1) | instid1(VALU_DEP_4)
	v_add_f64_e32 v[76:77], v[78:79], v[76:77]
	v_fma_f64 v[78:79], v[2:3], s[42:43], -v[119:120]
	v_add_f64_e32 v[30:31], v[30:31], v[220:221]
	v_dual_mov_b32 v221, v217 :: v_dual_mov_b32 v220, v216
	s_delay_alu instid0(VALU_DEP_3) | instskip(NEXT) | instid1(VALU_DEP_3)
	v_add_f64_e32 v[78:79], v[240:241], v[78:79]
	v_add_f64_e32 v[30:31], v[30:31], v[216:217]
	v_dual_mov_b32 v217, v201 :: v_dual_mov_b32 v216, v200
	s_delay_alu instid0(VALU_DEP_3) | instskip(SKIP_1) | instid1(VALU_DEP_4)
	v_add_f64_e32 v[78:79], v[84:85], v[78:79]
	v_fma_f64 v[84:85], v[20:21], s[52:53], -v[134:135]
	v_add_f64_e32 v[30:31], v[30:31], v[210:211]
	v_dual_mov_b32 v211, v126 :: v_dual_mov_b32 v210, v125
	s_delay_alu instid0(VALU_DEP_3) | instskip(SKIP_1) | instid1(VALU_DEP_4)
	v_add_f64_e32 v[76:77], v[84:85], v[76:77]
	v_fma_f64 v[84:85], v[20:21], s[14:15], -v[150:151]
	v_add_f64_e32 v[30:31], v[30:31], v[166:167]
	v_dual_mov_b32 v166, v208 :: v_dual_mov_b32 v167, v209
	v_dual_mov_b32 v209, v41 :: v_dual_mov_b32 v208, v40
	;; [unrolled: 1-line block ×3, first 2 shown]
	s_delay_alu instid0(VALU_DEP_1)
	v_add_f64_e64 v[68:69], v[222:223], -v[40:41]
	scratch_load_b64 v[222:223], off, off offset:592 ; 8-byte Folded Reload
	v_add_f64_e32 v[78:79], v[84:85], v[78:79]
	v_fma_f64 v[84:85], v[28:29], s[42:43], -v[136:137]
	v_add_f64_e32 v[30:31], v[30:31], v[218:219]
	scratch_load_b64 v[218:219], off, off offset:616 ; 8-byte Folded Reload
	v_mul_f64_e32 v[128:129], s[44:45], v[68:69]
	v_add_f64_e32 v[76:77], v[84:85], v[76:77]
	v_fma_f64 v[84:85], v[28:29], s[24:25], -v[138:139]
	v_add_f64_e32 v[30:31], v[30:31], v[166:167]
	s_delay_alu instid0(VALU_DEP_2) | instskip(SKIP_1) | instid1(VALU_DEP_3)
	v_add_f64_e32 v[78:79], v[84:85], v[78:79]
	v_fma_f64 v[84:85], v[60:61], s[14:15], -v[152:153]
	v_add_f64_e32 v[30:31], v[30:31], v[160:161]
	s_delay_alu instid0(VALU_DEP_2) | instskip(SKIP_1) | instid1(VALU_DEP_3)
	;; [unrolled: 4-line block ×7, first 2 shown]
	v_add_f64_e32 v[78:79], v[84:85], v[78:79]
	v_fma_f64 v[84:85], v[70:71], s[20:21], -v[144:145]
	v_add_f64_e32 v[30:31], v[30:31], v[42:43]
	s_delay_alu instid0(VALU_DEP_2)
	v_add_f64_e32 v[76:77], v[84:85], v[76:77]
	v_fma_f64 v[84:85], v[70:71], s[38:39], -v[146:147]
	ds_store_2addr_b64 v96, v[30:31], v[12:13] offset1:7
	v_fma_f64 v[12:13], v[20:21], s[20:21], -v[14:15]
	v_fma_f64 v[30:31], v[62:63], s[42:43], -v[24:25]
	v_add_f64_e32 v[78:79], v[84:85], v[78:79]
	v_fma_f64 v[84:85], v[10:11], s[42:43], -v[101:102]
	ds_store_2addr_b64 v96, v[78:79], v[76:77] offset0:70 offset1:77
	v_fma_f64 v[76:77], v[2:3], s[14:15], -v[88:89]
	v_fma_f64 v[78:79], v[10:11], s[30:31], -v[170:171]
	s_delay_alu instid0(VALU_DEP_2) | instskip(NEXT) | instid1(VALU_DEP_1)
	v_add_f64_e32 v[76:77], v[240:241], v[76:77]
	v_add_f64_e32 v[76:77], v[78:79], v[76:77]
	v_fma_f64 v[78:79], v[2:3], s[38:39], -v[92:93]
	v_fma_f64 v[2:3], v[2:3], s[52:53], -v[6:7]
	;; [unrolled: 1-line block ×3, first 2 shown]
	v_mul_f64_e32 v[10:11], s[4:5], v[68:69]
	s_delay_alu instid0(VALU_DEP_4) | instskip(NEXT) | instid1(VALU_DEP_4)
	v_add_f64_e32 v[78:79], v[240:241], v[78:79]
	v_add_f64_e32 v[2:3], v[240:241], v[2:3]
	v_mul_f64_e32 v[240:241], s[48:49], v[68:69]
	s_delay_alu instid0(VALU_DEP_3) | instskip(SKIP_1) | instid1(VALU_DEP_4)
	v_add_f64_e32 v[78:79], v[84:85], v[78:79]
	v_fma_f64 v[84:85], v[20:21], s[38:39], -v[103:104]
	v_add_f64_e32 v[14:15], v[6:7], v[2:3]
	v_add_f64_e32 v[2:3], v[226:227], v[208:209]
	s_delay_alu instid0(VALU_DEP_3) | instskip(SKIP_2) | instid1(VALU_DEP_2)
	v_add_f64_e32 v[76:77], v[84:85], v[76:77]
	v_fma_f64 v[84:85], v[20:21], s[10:11], -v[97:98]
	v_fma_f64 v[20:21], v[60:61], s[38:39], -v[18:19]
	v_add_f64_e32 v[78:79], v[84:85], v[78:79]
	v_fma_f64 v[84:85], v[28:29], s[52:53], -v[105:106]
	s_delay_alu instid0(VALU_DEP_1) | instskip(SKIP_2) | instid1(VALU_DEP_2)
	v_add_f64_e32 v[76:77], v[84:85], v[76:77]
	v_fma_f64 v[84:85], v[28:29], s[20:21], -v[94:95]
	v_fma_f64 v[28:29], v[248:249], s[24:25], -v[22:23]
	v_add_f64_e32 v[78:79], v[84:85], v[78:79]
	v_fma_f64 v[84:85], v[60:61], s[20:21], -v[107:108]
	s_delay_alu instid0(VALU_DEP_1)
	v_add_f64_e32 v[76:77], v[84:85], v[76:77]
	v_fma_f64 v[84:85], v[60:61], s[30:31], -v[109:110]
	v_add_f64_e64 v[60:61], v[228:229], -v[36:37]
	scratch_load_b64 v[228:229], off, off offset:608 ; 8-byte Folded Reload
	v_add_f64_e32 v[78:79], v[84:85], v[78:79]
	v_fma_f64 v[84:85], v[248:249], s[42:43], -v[111:112]
	v_mul_f64_e32 v[6:7], s[50:51], v[60:61]
	s_delay_alu instid0(VALU_DEP_2) | instskip(SKIP_1) | instid1(VALU_DEP_3)
	v_add_f64_e32 v[76:77], v[84:85], v[76:77]
	v_fma_f64 v[84:85], v[248:249], s[14:15], -v[113:114]
	v_fma_f64 v[8:9], v[2:3], s[52:53], v[6:7]
	s_delay_alu instid0(VALU_DEP_2) | instskip(SKIP_1) | instid1(VALU_DEP_3)
	v_add_f64_e32 v[78:79], v[84:85], v[78:79]
	v_fma_f64 v[84:85], v[62:63], s[24:25], -v[115:116]
	v_add_f64_e32 v[18:19], v[236:237], v[8:9]
	s_wait_loadcnt 0x1
	v_add_f64_e32 v[8:9], v[196:197], v[218:219]
	s_delay_alu instid0(VALU_DEP_3) | instskip(SKIP_2) | instid1(VALU_DEP_4)
	v_add_f64_e32 v[76:77], v[84:85], v[76:77]
	v_fma_f64 v[84:85], v[62:63], s[52:53], -v[90:91]
	v_add_f64_e64 v[62:63], v[194:195], -v[46:47]
	v_fma_f64 v[22:23], v[8:9], s[10:11], v[10:11]
	v_fma_f64 v[134:135], v[8:9], s[42:43], v[128:129]
	;; [unrolled: 1-line block ×3, first 2 shown]
	v_add_f64_e32 v[78:79], v[84:85], v[78:79]
	v_fma_f64 v[84:85], v[70:71], s[10:11], -v[86:87]
	v_add_f64_e32 v[18:19], v[22:23], v[18:19]
	v_add_f64_e32 v[22:23], v[12:13], v[14:15]
	;; [unrolled: 1-line block ×3, first 2 shown]
	v_mul_f64_e32 v[14:15], s[18:19], v[62:63]
	v_add_f64_e64 v[70:71], v[182:183], -v[58:59]
	v_mul_f64_e32 v[87:88], s[22:23], v[68:69]
	v_add_f64_e32 v[78:79], v[82:83], v[78:79]
	v_add_f64_e32 v[76:77], v[84:85], v[76:77]
	;; [unrolled: 1-line block ×4, first 2 shown]
	v_fma_f64 v[24:25], v[12:13], s[20:21], v[14:15]
	v_fma_f64 v[89:90], v[8:9], s[24:25], v[87:88]
	ds_store_2addr_b64 v96, v[78:79], v[76:77] offset0:84 offset1:91
	s_clause 0x5
	scratch_store_b64 off, v[194:195], off offset:320
	scratch_store_b64 off, v[46:47], off offset:416
	;; [unrolled: 1-line block ×6, first 2 shown]
	v_dual_mov_b32 v214, v226 :: v_dual_mov_b32 v215, v227
	scratch_load_b64 v[226:227], off, off offset:600 ; 8-byte Folded Reload
	s_clause 0x3
	scratch_store_b64 off, v[182:183], off offset:328
	scratch_store_b64 off, v[58:59], off offset:368
	;; [unrolled: 1-line block ×4, first 2 shown]
	scratch_load_b32 v46, off, off offset:296 th:TH_LOAD_LU ; 4-byte Folded Reload
	v_add_f64_e32 v[24:25], v[24:25], v[18:19]
	v_mul_f64_e32 v[18:19], s[12:13], v[64:65]
	s_clause 0x1
	scratch_store_b64 off, v[132:133], off offset:280
	scratch_store_b64 off, v[148:149], off offset:296
	v_dual_mov_b32 v50, v196 :: v_dual_mov_b32 v51, v197
	v_dual_mov_b32 v54, v192 :: v_dual_mov_b32 v55, v193
	s_clause 0x2
	scratch_store_b64 off, v[186:187], off offset:392
	scratch_store_b64 off, v[198:199], off offset:408
	;; [unrolled: 1-line block ×3, first 2 shown]
	v_fma_f64 v[26:27], v[16:17], s[14:15], v[18:19]
	s_delay_alu instid0(VALU_DEP_1) | instskip(SKIP_3) | instid1(VALU_DEP_3)
	v_add_f64_e32 v[24:25], v[26:27], v[24:25]
	v_add_f64_e32 v[26:27], v[20:21], v[22:23]
	;; [unrolled: 1-line block ×3, first 2 shown]
	v_mul_f64_e32 v[22:23], s[34:35], v[66:67]
	v_add_f64_e32 v[28:29], v[28:29], v[26:27]
	v_mul_f64_e32 v[26:27], s[22:23], v[70:71]
	s_delay_alu instid0(VALU_DEP_3) | instskip(NEXT) | instid1(VALU_DEP_3)
	v_fma_f64 v[34:35], v[20:21], s[38:39], v[22:23]
	v_add_f64_e32 v[74:75], v[30:31], v[28:29]
	s_wait_loadcnt 0x2
	v_add_f64_e32 v[28:29], v[178:179], v[228:229]
	s_delay_alu instid0(VALU_DEP_3) | instskip(SKIP_1) | instid1(VALU_DEP_4)
	v_add_f64_e32 v[34:35], v[34:35], v[24:25]
	v_add_f64_e32 v[24:25], v[172:173], v[186:187]
	;; [unrolled: 1-line block ×4, first 2 shown]
	s_delay_alu instid0(VALU_DEP_3) | instskip(SKIP_3) | instid1(VALU_DEP_1)
	v_fma_f64 v[72:73], v[24:25], s[24:25], v[26:27]
	ds_store_b64 v96, v[78:79] offset:896
	v_add_f64_e32 v[34:35], v[72:73], v[34:35]
	v_add_f64_e64 v[72:73], v[176:177], -v[184:185]
	v_mul_f64_e32 v[30:31], s[40:41], v[72:73]
	s_delay_alu instid0(VALU_DEP_1)
	v_fma_f64 v[76:77], v[28:29], s[42:43], v[30:31]
	s_wait_loadcnt 0x1
	v_add_f64_e64 v[74:75], v[132:133], -v[226:227]
	v_dual_mov_b32 v132, v188 :: v_dual_mov_b32 v133, v189
	s_wait_loadcnt 0x0
	v_and_b32_e32 v52, 0xffff, v46
	scratch_load_b32 v46, off, off offset:312 th:TH_LOAD_LU ; 4-byte Folded Reload
	s_clause 0x1
	scratch_store_b64 off, v[172:173], off offset:384
	scratch_store_b64 off, v[178:179], off offset:312
	v_mad_u32_u24 v52, 0x3b8, v52, 0
	v_add_f64_e32 v[76:77], v[76:77], v[34:35]
	v_mul_f64_e32 v[34:35], s[26:27], v[74:75]
	s_delay_alu instid0(VALU_DEP_1) | instskip(NEXT) | instid1(VALU_DEP_1)
	v_fma_f64 v[80:81], v[32:33], s[30:31], v[34:35]
	v_add_f64_e32 v[76:77], v[80:81], v[76:77]
	v_mul_f64_e32 v[81:82], s[12:13], v[68:69]
	s_delay_alu instid0(VALU_DEP_1) | instskip(SKIP_4) | instid1(VALU_DEP_3)
	v_fma_f64 v[83:84], v[8:9], s[14:15], v[81:82]
	s_wait_loadcnt 0x0
	v_lshlrev_b32_e32 v53, 3, v46
	v_add_f64_e32 v[78:79], v[236:237], v[214:215]
	v_dual_mov_b32 v47, v45 :: v_dual_mov_b32 v46, v44
	v_add3_u32 v80, v52, v53, v127
	s_delay_alu instid0(VALU_DEP_3) | instskip(NEXT) | instid1(VALU_DEP_1)
	v_add_f64_e32 v[78:79], v[78:79], v[196:197]
	v_add_f64_e32 v[78:79], v[78:79], v[192:193]
	s_delay_alu instid0(VALU_DEP_1) | instskip(NEXT) | instid1(VALU_DEP_1)
	v_add_f64_e32 v[78:79], v[78:79], v[132:133]
	v_add_f64_e32 v[78:79], v[78:79], v[222:223]
	s_delay_alu instid0(VALU_DEP_1) | instskip(NEXT) | instid1(VALU_DEP_1)
	v_add_f64_e32 v[78:79], v[78:79], v[172:173]
	v_add_f64_e32 v[78:79], v[78:79], v[178:179]
	s_delay_alu instid0(VALU_DEP_1) | instskip(SKIP_1) | instid1(VALU_DEP_1)
	v_add_f64_e32 v[78:79], v[78:79], v[148:149]
	v_dual_mov_b32 v148, v174 :: v_dual_mov_b32 v149, v175
	v_add_f64_e32 v[78:79], v[78:79], v[148:149]
	s_delay_alu instid0(VALU_DEP_1) | instskip(NEXT) | instid1(VALU_DEP_1)
	v_add_f64_e32 v[78:79], v[78:79], v[228:229]
	v_add_f64_e32 v[78:79], v[78:79], v[186:187]
	s_delay_alu instid0(VALU_DEP_1) | instskip(NEXT) | instid1(VALU_DEP_1)
	v_add_f64_e32 v[78:79], v[78:79], v[198:199]
	;; [unrolled: 3-line block ×3, first 2 shown]
	v_add_f64_e32 v[78:79], v[78:79], v[218:219]
	s_delay_alu instid0(VALU_DEP_1) | instskip(SKIP_2) | instid1(VALU_DEP_1)
	v_add_f64_e32 v[78:79], v[78:79], v[208:209]
	ds_store_2addr_b64 v80, v[78:79], v[76:77] offset1:7
	v_mul_f64_e32 v[76:77], s[4:5], v[60:61]
	v_fma_f64 v[78:79], v[2:3], s[10:11], v[76:77]
	s_delay_alu instid0(VALU_DEP_1) | instskip(NEXT) | instid1(VALU_DEP_1)
	v_add_f64_e32 v[78:79], v[236:237], v[78:79]
	v_add_f64_e32 v[78:79], v[83:84], v[78:79]
	v_mul_f64_e32 v[83:84], s[18:19], v[60:61]
	s_delay_alu instid0(VALU_DEP_1) | instskip(NEXT) | instid1(VALU_DEP_1)
	v_fma_f64 v[85:86], v[2:3], s[20:21], v[83:84]
	v_add_f64_e32 v[85:86], v[236:237], v[85:86]
	s_delay_alu instid0(VALU_DEP_1) | instskip(SKIP_1) | instid1(VALU_DEP_1)
	v_add_f64_e32 v[85:86], v[89:90], v[85:86]
	v_mul_f64_e32 v[89:90], s[22:23], v[62:63]
	v_fma_f64 v[91:92], v[12:13], s[24:25], v[89:90]
	s_delay_alu instid0(VALU_DEP_1) | instskip(SKIP_1) | instid1(VALU_DEP_1)
	v_add_f64_e32 v[78:79], v[91:92], v[78:79]
	v_mul_f64_e32 v[91:92], s[28:29], v[62:63]
	v_fma_f64 v[93:94], v[12:13], s[30:31], v[91:92]
	;; [unrolled: 4-line block ×12, first 2 shown]
	s_delay_alu instid0(VALU_DEP_1) | instskip(SKIP_4) | instid1(VALU_DEP_2)
	v_add_f64_e32 v[85:86], v[117:118], v[85:86]
	v_mul_f64_e32 v[117:118], s[26:27], v[68:69]
	ds_store_2addr_b64 v80, v[78:79], v[85:86] offset0:14 offset1:21
	v_mul_f64_e32 v[78:79], s[12:13], v[60:61]
	v_fma_f64 v[119:120], v[8:9], s[30:31], v[117:118]
	v_fma_f64 v[85:86], v[2:3], s[14:15], v[78:79]
	s_delay_alu instid0(VALU_DEP_1) | instskip(NEXT) | instid1(VALU_DEP_1)
	v_add_f64_e32 v[85:86], v[236:237], v[85:86]
	v_add_f64_e32 v[85:86], v[119:120], v[85:86]
	v_mul_f64_e32 v[119:120], s[34:35], v[60:61]
	s_delay_alu instid0(VALU_DEP_1) | instskip(NEXT) | instid1(VALU_DEP_1)
	v_fma_f64 v[121:122], v[2:3], s[38:39], v[119:120]
	v_add_f64_e32 v[121:122], v[236:237], v[121:122]
	s_delay_alu instid0(VALU_DEP_1) | instskip(SKIP_1) | instid1(VALU_DEP_1)
	v_add_f64_e32 v[121:122], v[134:135], v[121:122]
	v_mul_f64_e32 v[134:135], s[36:37], v[62:63]
	v_fma_f64 v[136:137], v[12:13], s[38:39], v[134:135]
	s_delay_alu instid0(VALU_DEP_1) | instskip(SKIP_1) | instid1(VALU_DEP_1)
	v_add_f64_e32 v[85:86], v[136:137], v[85:86]
	v_mul_f64_e32 v[136:137], s[46:47], v[62:63]
	v_fma_f64 v[138:139], v[12:13], s[10:11], v[136:137]
	;; [unrolled: 4-line block ×12, first 2 shown]
	s_delay_alu instid0(VALU_DEP_1) | instskip(SKIP_4) | instid1(VALU_DEP_2)
	v_add_f64_e32 v[121:122], v[162:163], v[121:122]
	v_mul_f64_e32 v[162:163], s[36:37], v[68:69]
	ds_store_2addr_b64 v80, v[85:86], v[121:122] offset0:28 offset1:35
	v_mul_f64_e32 v[85:86], s[22:23], v[60:61]
	v_fma_f64 v[168:169], v[8:9], s[38:39], v[162:163]
	v_fma_f64 v[121:122], v[2:3], s[24:25], v[85:86]
	s_delay_alu instid0(VALU_DEP_1) | instskip(NEXT) | instid1(VALU_DEP_1)
	v_add_f64_e32 v[121:122], v[236:237], v[121:122]
	v_add_f64_e32 v[121:122], v[168:169], v[121:122]
	v_mul_f64_e32 v[168:169], s[40:41], v[60:61]
	s_delay_alu instid0(VALU_DEP_1) | instskip(NEXT) | instid1(VALU_DEP_1)
	v_fma_f64 v[170:171], v[2:3], s[42:43], v[168:169]
	v_add_f64_e32 v[170:171], v[236:237], v[170:171]
	s_delay_alu instid0(VALU_DEP_1) | instskip(SKIP_1) | instid1(VALU_DEP_1)
	v_add_f64_e32 v[170:171], v[242:243], v[170:171]
	v_mul_f64_e32 v[242:243], s[50:51], v[62:63]
	v_fma_f64 v[244:245], v[12:13], s[52:53], v[242:243]
	s_delay_alu instid0(VALU_DEP_1) | instskip(SKIP_1) | instid1(VALU_DEP_1)
	v_add_f64_e32 v[121:122], v[244:245], v[121:122]
	v_mul_f64_e32 v[244:245], s[12:13], v[62:63]
	v_fma_f64 v[246:247], v[12:13], s[14:15], v[244:245]
	;; [unrolled: 4-line block ×12, first 2 shown]
	s_delay_alu instid0(VALU_DEP_1)
	v_add_f64_e32 v[52:53], v[52:53], v[56:57]
	v_mul_f64_e32 v[56:57], s[54:55], v[68:69]
	ds_store_2addr_b64 v80, v[58:59], v[52:53] offset0:42 offset1:49
	v_mul_f64_e32 v[52:53], s[26:27], v[60:61]
	v_fma_f64 v[60:61], v[8:9], s[52:53], v[56:57]
	v_fma_f64 v[56:57], v[8:9], s[52:53], -v[56:57]
	s_delay_alu instid0(VALU_DEP_3) | instskip(SKIP_1) | instid1(VALU_DEP_2)
	v_fma_f64 v[58:59], v[2:3], s[30:31], v[52:53]
	v_fma_f64 v[52:53], v[2:3], s[30:31], -v[52:53]
	v_add_f64_e32 v[58:59], v[236:237], v[58:59]
	s_delay_alu instid0(VALU_DEP_2) | instskip(NEXT) | instid1(VALU_DEP_2)
	v_add_f64_e32 v[52:53], v[236:237], v[52:53]
	v_add_f64_e32 v[58:59], v[60:61], v[58:59]
	s_delay_alu instid0(VALU_DEP_2) | instskip(SKIP_2) | instid1(VALU_DEP_2)
	v_add_f64_e32 v[52:53], v[56:57], v[52:53]
	v_mul_f64_e32 v[56:57], s[40:41], v[62:63]
	v_lshlrev_b32_e32 v62, 3, v100
	v_fma_f64 v[60:61], v[12:13], s[42:43], v[56:57]
	v_fma_f64 v[56:57], v[12:13], s[42:43], -v[56:57]
	s_delay_alu instid0(VALU_DEP_2) | instskip(NEXT) | instid1(VALU_DEP_2)
	v_add_f64_e32 v[58:59], v[60:61], v[58:59]
	v_add_f64_e32 v[52:53], v[56:57], v[52:53]
	v_mul_f64_e32 v[56:57], s[46:47], v[64:65]
	s_delay_alu instid0(VALU_DEP_1) | instskip(SKIP_1) | instid1(VALU_DEP_2)
	v_fma_f64 v[60:61], v[16:17], s[10:11], v[56:57]
	v_fma_f64 v[56:57], v[16:17], s[10:11], -v[56:57]
	v_add_f64_e32 v[58:59], v[60:61], v[58:59]
	s_delay_alu instid0(VALU_DEP_2) | instskip(SKIP_1) | instid1(VALU_DEP_1)
	v_add_f64_e32 v[52:53], v[56:57], v[52:53]
	v_mul_f64_e32 v[56:57], s[22:23], v[66:67]
	v_fma_f64 v[60:61], v[20:21], s[24:25], v[56:57]
	v_fma_f64 v[56:57], v[20:21], s[24:25], -v[56:57]
	s_delay_alu instid0(VALU_DEP_2) | instskip(NEXT) | instid1(VALU_DEP_2)
	v_add_f64_e32 v[58:59], v[60:61], v[58:59]
	v_add_f64_e32 v[52:53], v[56:57], v[52:53]
	v_mul_f64_e32 v[56:57], s[48:49], v[70:71]
	s_delay_alu instid0(VALU_DEP_1) | instskip(SKIP_1) | instid1(VALU_DEP_2)
	v_fma_f64 v[60:61], v[24:25], s[20:21], v[56:57]
	v_fma_f64 v[56:57], v[24:25], s[20:21], -v[56:57]
	v_add_f64_e32 v[58:59], v[60:61], v[58:59]
	s_delay_alu instid0(VALU_DEP_2) | instskip(SKIP_1) | instid1(VALU_DEP_1)
	v_add_f64_e32 v[52:53], v[56:57], v[52:53]
	v_mul_f64_e32 v[56:57], s[34:35], v[72:73]
	v_fma_f64 v[60:61], v[28:29], s[38:39], v[56:57]
	v_fma_f64 v[56:57], v[28:29], s[38:39], -v[56:57]
	s_delay_alu instid0(VALU_DEP_2) | instskip(NEXT) | instid1(VALU_DEP_2)
	v_add_f64_e32 v[58:59], v[60:61], v[58:59]
	v_add_f64_e32 v[52:53], v[56:57], v[52:53]
	v_mul_f64_e32 v[56:57], s[56:57], v[74:75]
	s_delay_alu instid0(VALU_DEP_1) | instskip(SKIP_1) | instid1(VALU_DEP_2)
	v_fma_f64 v[60:61], v[32:33], s[14:15], v[56:57]
	v_fma_f64 v[56:57], v[32:33], s[14:15], -v[56:57]
	v_add_f64_e32 v[58:59], v[60:61], v[58:59]
	s_delay_alu instid0(VALU_DEP_2) | instskip(SKIP_4) | instid1(VALU_DEP_2)
	v_add_f64_e32 v[52:53], v[56:57], v[52:53]
	v_fma_f64 v[56:57], v[8:9], s[38:39], -v[162:163]
	ds_store_2addr_b64 v80, v[58:59], v[52:53] offset0:56 offset1:63
	v_fma_f64 v[52:53], v[2:3], s[24:25], -v[85:86]
	v_fma_f64 v[58:59], v[8:9], s[20:21], -v[240:241]
	v_add_f64_e32 v[52:53], v[236:237], v[52:53]
	s_delay_alu instid0(VALU_DEP_1) | instskip(SKIP_1) | instid1(VALU_DEP_1)
	v_add_f64_e32 v[52:53], v[56:57], v[52:53]
	v_fma_f64 v[56:57], v[2:3], s[42:43], -v[168:169]
	v_add_f64_e32 v[56:57], v[236:237], v[56:57]
	s_delay_alu instid0(VALU_DEP_1) | instskip(SKIP_1) | instid1(VALU_DEP_1)
	v_add_f64_e32 v[56:57], v[58:59], v[56:57]
	v_fma_f64 v[58:59], v[12:13], s[52:53], -v[242:243]
	v_add_f64_e32 v[52:53], v[58:59], v[52:53]
	v_fma_f64 v[58:59], v[12:13], s[14:15], -v[244:245]
	s_delay_alu instid0(VALU_DEP_1) | instskip(SKIP_1) | instid1(VALU_DEP_1)
	v_add_f64_e32 v[56:57], v[58:59], v[56:57]
	v_fma_f64 v[58:59], v[16:17], s[42:43], -v[246:247]
	v_add_f64_e32 v[52:53], v[58:59], v[52:53]
	v_fma_f64 v[58:59], v[16:17], s[24:25], -v[248:249]
	;; [unrolled: 5-line block ×6, first 2 shown]
	s_delay_alu instid0(VALU_DEP_1) | instskip(SKIP_4) | instid1(VALU_DEP_2)
	v_add_f64_e32 v[56:57], v[58:59], v[56:57]
	v_fma_f64 v[58:59], v[8:9], s[42:43], -v[128:129]
	ds_store_2addr_b64 v80, v[56:57], v[52:53] offset0:70 offset1:77
	v_fma_f64 v[52:53], v[2:3], s[14:15], -v[78:79]
	v_fma_f64 v[56:57], v[8:9], s[30:31], -v[117:118]
	v_add_f64_e32 v[52:53], v[236:237], v[52:53]
	s_delay_alu instid0(VALU_DEP_1) | instskip(SKIP_1) | instid1(VALU_DEP_1)
	v_add_f64_e32 v[52:53], v[56:57], v[52:53]
	v_fma_f64 v[56:57], v[2:3], s[38:39], -v[119:120]
	v_add_f64_e32 v[56:57], v[236:237], v[56:57]
	s_delay_alu instid0(VALU_DEP_1) | instskip(SKIP_1) | instid1(VALU_DEP_1)
	v_add_f64_e32 v[56:57], v[58:59], v[56:57]
	v_fma_f64 v[58:59], v[12:13], s[38:39], -v[134:135]
	v_add_f64_e32 v[52:53], v[58:59], v[52:53]
	v_fma_f64 v[58:59], v[12:13], s[10:11], -v[136:137]
	s_delay_alu instid0(VALU_DEP_1) | instskip(SKIP_1) | instid1(VALU_DEP_1)
	v_add_f64_e32 v[56:57], v[58:59], v[56:57]
	v_fma_f64 v[58:59], v[16:17], s[52:53], -v[138:139]
	v_add_f64_e32 v[52:53], v[58:59], v[52:53]
	v_fma_f64 v[58:59], v[16:17], s[20:21], -v[140:141]
	;; [unrolled: 5-line block ×6, first 2 shown]
	s_delay_alu instid0(VALU_DEP_1) | instskip(SKIP_4) | instid1(VALU_DEP_2)
	v_add_f64_e32 v[56:57], v[58:59], v[56:57]
	v_fma_f64 v[58:59], v[8:9], s[24:25], -v[87:88]
	ds_store_2addr_b64 v80, v[56:57], v[52:53] offset0:84 offset1:91
	v_fma_f64 v[52:53], v[2:3], s[10:11], -v[76:77]
	v_fma_f64 v[56:57], v[8:9], s[14:15], -v[81:82]
	v_add_f64_e32 v[52:53], v[236:237], v[52:53]
	s_delay_alu instid0(VALU_DEP_1) | instskip(SKIP_4) | instid1(VALU_DEP_4)
	v_add_f64_e32 v[52:53], v[56:57], v[52:53]
	v_fma_f64 v[56:57], v[2:3], s[20:21], -v[83:84]
	v_fma_f64 v[2:3], v[2:3], s[52:53], -v[6:7]
	;; [unrolled: 1-line block ×4, first 2 shown]
	v_add_f64_e32 v[56:57], v[236:237], v[56:57]
	s_delay_alu instid0(VALU_DEP_4) | instskip(NEXT) | instid1(VALU_DEP_2)
	v_add_f64_e32 v[2:3], v[236:237], v[2:3]
	v_add_f64_e32 v[56:57], v[58:59], v[56:57]
	v_fma_f64 v[58:59], v[12:13], s[24:25], -v[89:90]
	s_delay_alu instid0(VALU_DEP_3) | instskip(SKIP_1) | instid1(VALU_DEP_3)
	v_add_f64_e32 v[2:3], v[6:7], v[2:3]
	v_fma_f64 v[6:7], v[16:17], s[14:15], -v[18:19]
	v_add_f64_e32 v[52:53], v[58:59], v[52:53]
	v_fma_f64 v[58:59], v[12:13], s[30:31], -v[91:92]
	s_delay_alu instid0(VALU_DEP_4) | instskip(SKIP_1) | instid1(VALU_DEP_3)
	v_add_f64_e32 v[2:3], v[8:9], v[2:3]
	v_fma_f64 v[8:9], v[20:21], s[38:39], -v[22:23]
	v_add_f64_e32 v[56:57], v[58:59], v[56:57]
	v_fma_f64 v[58:59], v[16:17], s[30:31], -v[93:94]
	s_delay_alu instid0(VALU_DEP_4) | instskip(SKIP_1) | instid1(VALU_DEP_3)
	;; [unrolled: 5-line block ×4, first 2 shown]
	v_add_f64_e32 v[2:3], v[6:7], v[2:3]
	v_fma_f64 v[6:7], v[32:33], s[30:31], -v[34:35]
	v_add_f64_e32 v[52:53], v[58:59], v[52:53]
	v_fma_f64 v[58:59], v[20:21], s[10:11], -v[103:104]
	s_delay_alu instid0(VALU_DEP_4) | instskip(NEXT) | instid1(VALU_DEP_2)
	v_add_f64_e32 v[2:3], v[8:9], v[2:3]
	v_add_f64_e32 v[56:57], v[58:59], v[56:57]
	v_fma_f64 v[58:59], v[24:25], s[38:39], -v[105:106]
	s_delay_alu instid0(VALU_DEP_3) | instskip(NEXT) | instid1(VALU_DEP_2)
	v_add_f64_e32 v[2:3], v[6:7], v[2:3]
	v_add_f64_e32 v[52:53], v[58:59], v[52:53]
	v_fma_f64 v[58:59], v[24:25], s[52:53], -v[107:108]
	ds_store_b64 v80, v[2:3] offset:896
	v_add_f64_e32 v[56:57], v[58:59], v[56:57]
	v_fma_f64 v[58:59], v[28:29], s[20:21], -v[109:110]
	s_delay_alu instid0(VALU_DEP_1) | instskip(SKIP_1) | instid1(VALU_DEP_1)
	v_add_f64_e32 v[52:53], v[58:59], v[52:53]
	v_fma_f64 v[58:59], v[28:29], s[14:15], -v[111:112]
	v_add_f64_e32 v[56:57], v[58:59], v[56:57]
	v_fma_f64 v[58:59], v[32:33], s[52:53], -v[113:114]
	s_delay_alu instid0(VALU_DEP_1) | instskip(SKIP_1) | instid1(VALU_DEP_1)
	v_add_f64_e32 v[52:53], v[58:59], v[52:53]
	v_fma_f64 v[58:59], v[32:33], s[42:43], -v[115:116]
	v_add_f64_e32 v[56:57], v[58:59], v[56:57]
	ds_store_2addr_b64 v80, v[56:57], v[52:53] offset0:98 offset1:105
	s_and_saveexec_b32 s1, s0
	s_cbranch_execz .LBB0_18
; %bb.17:
	s_clause 0x3
	scratch_load_b64 v[2:3], off, off offset:24
	scratch_load_b64 v[6:7], off, off offset:256
	scratch_load_b64 v[168:169], off, off offset:264
	scratch_load_b64 v[170:171], off, off offset:272
	v_add3_u32 v79, 0, v62, v127
	s_delay_alu instid0(VALU_DEP_1) | instskip(SKIP_4) | instid1(VALU_DEP_2)
	v_add_nc_u32_e32 v95, 0x1000, v79
	s_wait_loadcnt 0x2
	v_add_f64_e64 v[6:7], v[6:7], -v[2:3]
	s_wait_loadcnt 0x0
	v_add_f64_e32 v[2:3], v[170:171], v[168:169]
	v_mul_f64_e32 v[14:15], s[40:41], v[6:7]
	v_mul_f64_e32 v[20:21], s[22:23], v[6:7]
	s_delay_alu instid0(VALU_DEP_2) | instskip(SKIP_1) | instid1(VALU_DEP_2)
	v_fma_f64 v[8:9], v[2:3], s[42:43], v[14:15]
	v_fma_f64 v[14:15], v[2:3], s[42:43], -v[14:15]
	v_add_f64_e32 v[12:13], v[4:5], v[8:9]
	s_clause 0x3
	scratch_load_b64 v[8:9], off, off offset:32
	scratch_load_b64 v[10:11], off, off offset:128
	;; [unrolled: 1-line block ×4, first 2 shown]
	v_add_f64_e32 v[14:15], v[4:5], v[14:15]
	s_wait_loadcnt 0x2
	v_add_f64_e64 v[10:11], v[10:11], -v[8:9]
	s_wait_loadcnt 0x0
	v_add_f64_e32 v[8:9], v[129:130], v[162:163]
	s_delay_alu instid0(VALU_DEP_2) | instskip(SKIP_2) | instid1(VALU_DEP_3)
	v_mul_f64_e32 v[16:17], s[48:49], v[10:11]
	v_mul_f64_e32 v[22:23], s[36:37], v[10:11]
	v_mul_f64_e32 v[101:102], s[12:13], v[10:11]
	v_fma_f64 v[18:19], v[8:9], s[20:21], v[16:17]
	s_delay_alu instid0(VALU_DEP_3) | instskip(SKIP_1) | instid1(VALU_DEP_4)
	v_fma_f64 v[24:25], v[8:9], s[38:39], v[22:23]
	v_fma_f64 v[16:17], v[8:9], s[20:21], -v[16:17]
	v_fma_f64 v[103:104], v[8:9], s[14:15], -v[101:102]
	s_delay_alu instid0(VALU_DEP_4) | instskip(SKIP_1) | instid1(VALU_DEP_4)
	v_add_f64_e32 v[18:19], v[18:19], v[12:13]
	v_fma_f64 v[12:13], v[2:3], s[24:25], v[20:21]
	v_add_f64_e32 v[14:15], v[16:17], v[14:15]
	v_fma_f64 v[16:17], v[2:3], s[24:25], -v[20:21]
	s_delay_alu instid0(VALU_DEP_3) | instskip(NEXT) | instid1(VALU_DEP_2)
	v_add_f64_e32 v[12:13], v[4:5], v[12:13]
	v_add_f64_e32 v[16:17], v[4:5], v[16:17]
	s_delay_alu instid0(VALU_DEP_2)
	v_add_f64_e32 v[24:25], v[24:25], v[12:13]
	s_clause 0x3
	scratch_load_b64 v[12:13], off, off offset:40
	scratch_load_b64 v[26:27], off, off offset:112
	scratch_load_b64 v[134:135], off, off offset:152
	scratch_load_b64 v[158:159], off, off offset:240
	s_wait_loadcnt 0x2
	v_add_f64_e64 v[26:27], v[26:27], -v[12:13]
	s_wait_loadcnt 0x0
	v_add_f64_e32 v[12:13], v[134:135], v[158:159]
	s_delay_alu instid0(VALU_DEP_2) | instskip(NEXT) | instid1(VALU_DEP_1)
	v_mul_f64_e32 v[28:29], s[12:13], v[26:27]
	v_fma_f64 v[30:31], v[12:13], s[14:15], v[28:29]
	s_delay_alu instid0(VALU_DEP_1) | instskip(SKIP_1) | instid1(VALU_DEP_1)
	v_add_f64_e32 v[18:19], v[30:31], v[18:19]
	v_mul_f64_e32 v[30:31], s[50:51], v[26:27]
	v_fma_f64 v[32:33], v[12:13], s[52:53], v[30:31]
	s_delay_alu instid0(VALU_DEP_1)
	v_add_f64_e32 v[24:25], v[32:33], v[24:25]
	s_clause 0x3
	scratch_load_b64 v[32:33], off, off offset:48
	scratch_load_b64 v[34:35], off, off offset:88
	scratch_load_b64 v[136:137], off, off offset:160
	scratch_load_b64 v[156:157], off, off offset:232
	s_wait_loadcnt 0x2
	v_add_f64_e64 v[32:33], v[34:35], -v[32:33]
	s_wait_loadcnt 0x0
	v_add_f64_e32 v[34:35], v[136:137], v[156:157]
	s_delay_alu instid0(VALU_DEP_2) | instskip(NEXT) | instid1(VALU_DEP_1)
	v_mul_f64_e32 v[52:53], s[58:59], v[32:33]
	v_fma_f64 v[56:57], v[34:35], s[24:25], v[52:53]
	s_delay_alu instid0(VALU_DEP_1) | instskip(SKIP_1) | instid1(VALU_DEP_1)
	v_add_f64_e32 v[18:19], v[56:57], v[18:19]
	v_mul_f64_e32 v[56:57], s[40:41], v[32:33]
	v_fma_f64 v[58:59], v[34:35], s[42:43], v[56:57]
	s_delay_alu instid0(VALU_DEP_1)
	v_add_f64_e32 v[24:25], v[58:59], v[24:25]
	s_clause 0x3
	scratch_load_b64 v[58:59], off, off offset:56
	scratch_load_b64 v[60:61], off, off offset:64
	scratch_load_b64 v[138:139], off, off offset:168
	scratch_load_b64 v[154:155], off, off offset:224
	s_wait_loadcnt 0x2
	v_add_f64_e64 v[58:59], v[60:61], -v[58:59]
	s_wait_loadcnt 0x0
	v_add_f64_e32 v[60:61], v[138:139], v[154:155]
	s_delay_alu instid0(VALU_DEP_2) | instskip(NEXT) | instid1(VALU_DEP_1)
	v_mul_f64_e32 v[63:64], s[50:51], v[58:59]
	v_fma_f64 v[65:66], v[60:61], s[52:53], v[63:64]
	s_delay_alu instid0(VALU_DEP_1) | instskip(SKIP_1) | instid1(VALU_DEP_1)
	v_add_f64_e32 v[18:19], v[65:66], v[18:19]
	v_mul_f64_e32 v[65:66], s[56:57], v[58:59]
	v_fma_f64 v[67:68], v[60:61], s[14:15], v[65:66]
	s_delay_alu instid0(VALU_DEP_1)
	v_add_f64_e32 v[24:25], v[67:68], v[24:25]
	s_clause 0x3
	scratch_load_b64 v[67:68], off, off offset:72
	scratch_load_b64 v[69:70], off, off offset:80
	scratch_load_b64 v[140:141], off, off offset:176
	scratch_load_b64 v[152:153], off, off offset:216
	s_wait_loadcnt 0x2
	v_add_f64_e64 v[67:68], v[67:68], -v[69:70]
	s_wait_loadcnt 0x0
	v_add_f64_e32 v[69:70], v[140:141], v[152:153]
	s_delay_alu instid0(VALU_DEP_2) | instskip(NEXT) | instid1(VALU_DEP_1)
	v_mul_f64_e32 v[71:72], s[26:27], v[67:68]
	v_fma_f64 v[73:74], v[69:70], s[30:31], v[71:72]
	s_delay_alu instid0(VALU_DEP_1) | instskip(SKIP_1) | instid1(VALU_DEP_1)
	v_add_f64_e32 v[18:19], v[73:74], v[18:19]
	v_mul_f64_e32 v[73:74], s[4:5], v[67:68]
	v_fma_f64 v[75:76], v[69:70], s[10:11], v[73:74]
	s_delay_alu instid0(VALU_DEP_1)
	v_add_f64_e32 v[24:25], v[75:76], v[24:25]
	s_clause 0x3
	scratch_load_b64 v[75:76], off, off offset:96
	scratch_load_b64 v[77:78], off, off offset:104
	scratch_load_b64 v[142:143], off, off offset:184
	scratch_load_b64 v[150:151], off, off offset:208
	s_wait_loadcnt 0x2
	v_add_f64_e64 v[75:76], v[75:76], -v[77:78]
	s_wait_loadcnt 0x0
	v_add_f64_e32 v[77:78], v[142:143], v[150:151]
	s_delay_alu instid0(VALU_DEP_2) | instskip(NEXT) | instid1(VALU_DEP_1)
	v_mul_f64_e32 v[81:82], s[46:47], v[75:76]
	v_fma_f64 v[83:84], v[77:78], s[10:11], v[81:82]
	s_delay_alu instid0(VALU_DEP_1) | instskip(SKIP_1) | instid1(VALU_DEP_1)
	v_add_f64_e32 v[18:19], v[83:84], v[18:19]
	v_mul_f64_e32 v[83:84], s[26:27], v[75:76]
	v_fma_f64 v[85:86], v[77:78], s[30:31], v[83:84]
	s_delay_alu instid0(VALU_DEP_1)
	v_add_f64_e32 v[24:25], v[85:86], v[24:25]
	s_clause 0x3
	scratch_load_b64 v[85:86], off, off offset:120
	scratch_load_b64 v[87:88], off, off offset:136
	scratch_load_b64 v[144:145], off, off offset:192
	scratch_load_b64 v[146:147], off, off offset:200
	s_wait_loadcnt 0x2
	v_add_f64_e64 v[85:86], v[85:86], -v[87:88]
	s_wait_loadcnt 0x0
	v_add_f64_e32 v[87:88], v[144:145], v[146:147]
	s_delay_alu instid0(VALU_DEP_2) | instskip(NEXT) | instid1(VALU_DEP_1)
	v_mul_f64_e32 v[89:90], s[34:35], v[85:86]
	v_fma_f64 v[91:92], v[87:88], s[38:39], v[89:90]
	s_delay_alu instid0(VALU_DEP_1) | instskip(SKIP_1) | instid1(VALU_DEP_1)
	v_add_f64_e32 v[18:19], v[91:92], v[18:19]
	v_mul_f64_e32 v[91:92], s[48:49], v[85:86]
	v_fma_f64 v[93:94], v[87:88], s[20:21], v[91:92]
	s_delay_alu instid0(VALU_DEP_1)
	v_add_f64_e32 v[24:25], v[93:94], v[24:25]
	v_mul_f64_e32 v[93:94], s[54:55], v[10:11]
	ds_store_2addr_b64 v95, v[24:25], v[18:19] offset0:6 offset1:13
	v_mul_f64_e32 v[18:19], s[26:27], v[6:7]
	v_fma_f64 v[97:98], v[8:9], s[52:53], -v[93:94]
	v_fma_f64 v[93:94], v[8:9], s[52:53], v[93:94]
	s_delay_alu instid0(VALU_DEP_3) | instskip(SKIP_1) | instid1(VALU_DEP_2)
	v_fma_f64 v[24:25], v[2:3], s[30:31], -v[18:19]
	v_fma_f64 v[18:19], v[2:3], s[30:31], v[18:19]
	v_add_f64_e32 v[24:25], v[4:5], v[24:25]
	s_delay_alu instid0(VALU_DEP_2) | instskip(NEXT) | instid1(VALU_DEP_2)
	v_add_f64_e32 v[18:19], v[4:5], v[18:19]
	v_add_f64_e32 v[24:25], v[97:98], v[24:25]
	s_delay_alu instid0(VALU_DEP_2) | instskip(SKIP_1) | instid1(VALU_DEP_1)
	v_add_f64_e32 v[18:19], v[93:94], v[18:19]
	v_mul_f64_e32 v[93:94], s[40:41], v[26:27]
	v_fma_f64 v[97:98], v[12:13], s[42:43], -v[93:94]
	v_fma_f64 v[93:94], v[12:13], s[42:43], v[93:94]
	s_delay_alu instid0(VALU_DEP_2) | instskip(NEXT) | instid1(VALU_DEP_2)
	v_add_f64_e32 v[24:25], v[97:98], v[24:25]
	v_add_f64_e32 v[18:19], v[93:94], v[18:19]
	v_mul_f64_e32 v[93:94], s[46:47], v[32:33]
	s_delay_alu instid0(VALU_DEP_1) | instskip(SKIP_1) | instid1(VALU_DEP_2)
	v_fma_f64 v[97:98], v[34:35], s[10:11], -v[93:94]
	v_fma_f64 v[93:94], v[34:35], s[10:11], v[93:94]
	v_add_f64_e32 v[24:25], v[97:98], v[24:25]
	s_delay_alu instid0(VALU_DEP_2) | instskip(SKIP_1) | instid1(VALU_DEP_1)
	v_add_f64_e32 v[18:19], v[93:94], v[18:19]
	v_mul_f64_e32 v[93:94], s[22:23], v[58:59]
	v_fma_f64 v[97:98], v[60:61], s[24:25], -v[93:94]
	v_fma_f64 v[93:94], v[60:61], s[24:25], v[93:94]
	s_delay_alu instid0(VALU_DEP_2) | instskip(NEXT) | instid1(VALU_DEP_2)
	v_add_f64_e32 v[24:25], v[97:98], v[24:25]
	v_add_f64_e32 v[18:19], v[93:94], v[18:19]
	v_mul_f64_e32 v[93:94], s[48:49], v[67:68]
	s_delay_alu instid0(VALU_DEP_1) | instskip(SKIP_1) | instid1(VALU_DEP_2)
	v_fma_f64 v[97:98], v[69:70], s[20:21], -v[93:94]
	v_fma_f64 v[93:94], v[69:70], s[20:21], v[93:94]
	;; [unrolled: 13-line block ×3, first 2 shown]
	v_add_f64_e32 v[24:25], v[97:98], v[24:25]
	s_delay_alu instid0(VALU_DEP_2) | instskip(SKIP_3) | instid1(VALU_DEP_2)
	v_add_f64_e32 v[18:19], v[93:94], v[18:19]
	ds_store_2addr_b64 v95, v[18:19], v[24:25] offset0:20 offset1:27
	v_fma_f64 v[18:19], v[8:9], s[38:39], -v[22:23]
	v_mul_f64_e32 v[24:25], s[26:27], v[10:11]
	v_add_f64_e32 v[16:17], v[18:19], v[16:17]
	v_fma_f64 v[18:19], v[12:13], s[14:15], -v[28:29]
	s_delay_alu instid0(VALU_DEP_3) | instskip(NEXT) | instid1(VALU_DEP_2)
	v_fma_f64 v[28:29], v[8:9], s[30:31], -v[24:25]
	v_add_f64_e32 v[14:15], v[18:19], v[14:15]
	v_fma_f64 v[18:19], v[12:13], s[52:53], -v[30:31]
	s_delay_alu instid0(VALU_DEP_1) | instskip(SKIP_1) | instid1(VALU_DEP_1)
	v_add_f64_e32 v[16:17], v[18:19], v[16:17]
	v_fma_f64 v[18:19], v[34:35], s[24:25], -v[52:53]
	v_add_f64_e32 v[14:15], v[18:19], v[14:15]
	v_fma_f64 v[18:19], v[34:35], s[42:43], -v[56:57]
	s_delay_alu instid0(VALU_DEP_1) | instskip(SKIP_1) | instid1(VALU_DEP_1)
	v_add_f64_e32 v[16:17], v[18:19], v[16:17]
	;; [unrolled: 5-line block ×5, first 2 shown]
	v_fma_f64 v[18:19], v[87:88], s[38:39], -v[89:90]
	v_add_f64_e32 v[14:15], v[18:19], v[14:15]
	v_fma_f64 v[18:19], v[87:88], s[20:21], -v[91:92]
	s_delay_alu instid0(VALU_DEP_1) | instskip(SKIP_4) | instid1(VALU_DEP_2)
	v_add_f64_e32 v[16:17], v[18:19], v[16:17]
	v_mul_f64_e32 v[18:19], s[44:45], v[10:11]
	ds_store_2addr_b64 v95, v[14:15], v[16:17] offset0:34 offset1:41
	v_mul_f64_e32 v[14:15], s[34:35], v[6:7]
	v_fma_f64 v[20:21], v[8:9], s[42:43], -v[18:19]
	v_fma_f64 v[16:17], v[2:3], s[38:39], -v[14:15]
	v_fma_f64 v[14:15], v[2:3], s[38:39], v[14:15]
	s_delay_alu instid0(VALU_DEP_2) | instskip(NEXT) | instid1(VALU_DEP_2)
	v_add_f64_e32 v[16:17], v[4:5], v[16:17]
	v_add_f64_e32 v[14:15], v[4:5], v[14:15]
	s_delay_alu instid0(VALU_DEP_2) | instskip(SKIP_1) | instid1(VALU_DEP_1)
	v_add_f64_e32 v[16:17], v[20:21], v[16:17]
	v_mul_f64_e32 v[20:21], s[12:13], v[6:7]
	v_fma_f64 v[22:23], v[2:3], s[14:15], -v[20:21]
	s_delay_alu instid0(VALU_DEP_1) | instskip(NEXT) | instid1(VALU_DEP_1)
	v_add_f64_e32 v[22:23], v[4:5], v[22:23]
	v_add_f64_e32 v[22:23], v[28:29], v[22:23]
	v_mul_f64_e32 v[28:29], s[46:47], v[26:27]
	s_delay_alu instid0(VALU_DEP_1) | instskip(NEXT) | instid1(VALU_DEP_1)
	v_fma_f64 v[30:31], v[12:13], s[10:11], -v[28:29]
	v_add_f64_e32 v[16:17], v[30:31], v[16:17]
	v_mul_f64_e32 v[30:31], s[36:37], v[26:27]
	s_delay_alu instid0(VALU_DEP_1) | instskip(NEXT) | instid1(VALU_DEP_1)
	v_fma_f64 v[52:53], v[12:13], s[38:39], -v[30:31]
	;; [unrolled: 4-line block ×12, first 2 shown]
	v_add_f64_e32 v[22:23], v[93:94], v[22:23]
	v_mul_f64_e32 v[93:94], s[22:23], v[10:11]
	v_mul_f64_e32 v[10:11], s[4:5], v[10:11]
	ds_store_2addr_b64 v95, v[16:17], v[22:23] offset0:48 offset1:55
	v_mul_f64_e32 v[16:17], s[18:19], v[6:7]
	v_fma_f64 v[97:98], v[8:9], s[24:25], -v[93:94]
	s_delay_alu instid0(VALU_DEP_2) | instskip(SKIP_1) | instid1(VALU_DEP_2)
	v_fma_f64 v[22:23], v[2:3], s[20:21], -v[16:17]
	v_fma_f64 v[16:17], v[2:3], s[20:21], v[16:17]
	v_add_f64_e32 v[22:23], v[4:5], v[22:23]
	s_delay_alu instid0(VALU_DEP_2) | instskip(NEXT) | instid1(VALU_DEP_2)
	v_add_f64_e32 v[16:17], v[4:5], v[16:17]
	v_add_f64_e32 v[22:23], v[97:98], v[22:23]
	v_mul_f64_e32 v[97:98], s[4:5], v[6:7]
	v_mul_f64_e32 v[6:7], s[50:51], v[6:7]
	s_delay_alu instid0(VALU_DEP_2) | instskip(NEXT) | instid1(VALU_DEP_1)
	v_fma_f64 v[99:100], v[2:3], s[10:11], -v[97:98]
	v_add_f64_e32 v[99:100], v[4:5], v[99:100]
	s_delay_alu instid0(VALU_DEP_1) | instskip(SKIP_1) | instid1(VALU_DEP_1)
	v_add_f64_e32 v[99:100], v[103:104], v[99:100]
	v_mul_f64_e32 v[103:104], s[28:29], v[26:27]
	v_fma_f64 v[105:106], v[12:13], s[30:31], -v[103:104]
	s_delay_alu instid0(VALU_DEP_1) | instskip(SKIP_1) | instid1(VALU_DEP_1)
	v_add_f64_e32 v[22:23], v[105:106], v[22:23]
	v_mul_f64_e32 v[105:106], s[22:23], v[26:27]
	v_fma_f64 v[107:108], v[12:13], s[24:25], -v[105:106]
	;; [unrolled: 4-line block ×12, first 2 shown]
	s_delay_alu instid0(VALU_DEP_1) | instskip(SKIP_4) | instid1(VALU_DEP_2)
	v_add_f64_e32 v[99:100], v[127:128], v[99:100]
	scratch_load_b32 v127, off, off offset:20 ; 4-byte Folded Reload
	ds_store_2addr_b64 v95, v[22:23], v[99:100] offset0:62 offset1:69
	v_fma_f64 v[22:23], v[8:9], s[24:25], v[93:94]
	v_fma_f64 v[93:94], v[8:9], s[14:15], v[101:102]
	v_add_f64_e32 v[16:17], v[22:23], v[16:17]
	v_fma_f64 v[22:23], v[2:3], s[10:11], v[97:98]
	s_delay_alu instid0(VALU_DEP_1) | instskip(NEXT) | instid1(VALU_DEP_1)
	v_add_f64_e32 v[22:23], v[4:5], v[22:23]
	v_add_f64_e32 v[22:23], v[93:94], v[22:23]
	v_fma_f64 v[93:94], v[12:13], s[30:31], v[103:104]
	s_delay_alu instid0(VALU_DEP_1) | instskip(SKIP_1) | instid1(VALU_DEP_1)
	v_add_f64_e32 v[16:17], v[93:94], v[16:17]
	v_fma_f64 v[93:94], v[12:13], s[24:25], v[105:106]
	v_add_f64_e32 v[22:23], v[93:94], v[22:23]
	v_fma_f64 v[93:94], v[34:35], s[38:39], v[107:108]
	s_delay_alu instid0(VALU_DEP_1) | instskip(SKIP_1) | instid1(VALU_DEP_1)
	v_add_f64_e32 v[16:17], v[93:94], v[16:17]
	v_fma_f64 v[93:94], v[34:35], s[30:31], v[109:110]
	;; [unrolled: 5-line block ×6, first 2 shown]
	v_add_f64_e32 v[22:23], v[93:94], v[22:23]
	v_add_nc_u32_e32 v93, 0x800, v79
	ds_store_2addr_b64 v93, v[22:23], v[16:17] offset0:234 offset1:241
	v_fma_f64 v[16:17], v[8:9], s[42:43], v[18:19]
	v_fma_f64 v[18:19], v[8:9], s[30:31], v[24:25]
	s_delay_alu instid0(VALU_DEP_2) | instskip(SKIP_1) | instid1(VALU_DEP_1)
	v_add_f64_e32 v[14:15], v[16:17], v[14:15]
	v_fma_f64 v[16:17], v[2:3], s[14:15], v[20:21]
	v_add_f64_e32 v[16:17], v[4:5], v[16:17]
	s_delay_alu instid0(VALU_DEP_1) | instskip(SKIP_1) | instid1(VALU_DEP_1)
	v_add_f64_e32 v[16:17], v[18:19], v[16:17]
	v_fma_f64 v[18:19], v[12:13], s[10:11], v[28:29]
	v_add_f64_e32 v[14:15], v[18:19], v[14:15]
	v_fma_f64 v[18:19], v[12:13], s[38:39], v[30:31]
	s_delay_alu instid0(VALU_DEP_1) | instskip(SKIP_1) | instid1(VALU_DEP_1)
	v_add_f64_e32 v[16:17], v[18:19], v[16:17]
	v_fma_f64 v[18:19], v[34:35], s[20:21], v[52:53]
	v_add_f64_e32 v[14:15], v[18:19], v[14:15]
	v_fma_f64 v[18:19], v[34:35], s[52:53], v[56:57]
	;; [unrolled: 5-line block ×6, first 2 shown]
	s_delay_alu instid0(VALU_DEP_1) | instskip(SKIP_4) | instid1(VALU_DEP_3)
	v_add_f64_e32 v[16:17], v[18:19], v[16:17]
	ds_store_2addr_b64 v93, v[16:17], v[14:15] offset0:248 offset1:255
	v_fma_f64 v[14:15], v[2:3], s[52:53], v[6:7]
	v_fma_f64 v[16:17], v[8:9], s[10:11], v[10:11]
	v_fma_f64 v[2:3], v[2:3], s[52:53], -v[6:7]
	v_add_f64_e32 v[14:15], v[4:5], v[14:15]
	s_delay_alu instid0(VALU_DEP_2) | instskip(NEXT) | instid1(VALU_DEP_2)
	v_add_f64_e32 v[2:3], v[4:5], v[2:3]
	v_add_f64_e32 v[14:15], v[16:17], v[14:15]
	v_mul_f64_e32 v[16:17], s[18:19], v[26:27]
	s_delay_alu instid0(VALU_DEP_1) | instskip(SKIP_1) | instid1(VALU_DEP_2)
	v_fma_f64 v[18:19], v[12:13], s[20:21], v[16:17]
	v_fma_f64 v[6:7], v[12:13], s[20:21], -v[16:17]
	v_add_f64_e32 v[14:15], v[18:19], v[14:15]
	v_mul_f64_e32 v[18:19], s[12:13], v[32:33]
	s_delay_alu instid0(VALU_DEP_1) | instskip(NEXT) | instid1(VALU_DEP_1)
	v_fma_f64 v[20:21], v[34:35], s[14:15], v[18:19]
	v_add_f64_e32 v[14:15], v[20:21], v[14:15]
	v_mul_f64_e32 v[20:21], s[34:35], v[58:59]
	s_delay_alu instid0(VALU_DEP_1) | instskip(NEXT) | instid1(VALU_DEP_1)
	v_fma_f64 v[22:23], v[60:61], s[38:39], v[20:21]
	;; [unrolled: 4-line block ×5, first 2 shown]
	v_add_f64_e32 v[14:15], v[28:29], v[14:15]
	v_add_f64_e32 v[28:29], v[4:5], v[170:171]
	v_fma_f64 v[4:5], v[8:9], s[10:11], -v[10:11]
	s_delay_alu instid0(VALU_DEP_2) | instskip(NEXT) | instid1(VALU_DEP_2)
	v_add_f64_e32 v[28:29], v[28:29], v[129:130]
	v_add_f64_e32 v[2:3], v[4:5], v[2:3]
	v_fma_f64 v[4:5], v[34:35], s[14:15], -v[18:19]
	s_delay_alu instid0(VALU_DEP_3) | instskip(NEXT) | instid1(VALU_DEP_3)
	v_add_f64_e32 v[28:29], v[28:29], v[134:135]
	v_add_f64_e32 v[2:3], v[6:7], v[2:3]
	v_fma_f64 v[6:7], v[60:61], s[38:39], -v[20:21]
	s_delay_alu instid0(VALU_DEP_3) | instskip(NEXT) | instid1(VALU_DEP_3)
	;; [unrolled: 4-line block ×5, first 2 shown]
	v_add_f64_e32 v[28:29], v[28:29], v[142:143]
	v_add_f64_e32 v[2:3], v[6:7], v[2:3]
	s_delay_alu instid0(VALU_DEP_2) | instskip(NEXT) | instid1(VALU_DEP_2)
	v_add_f64_e32 v[28:29], v[28:29], v[144:145]
	v_add_f64_e32 v[2:3], v[4:5], v[2:3]
	s_delay_alu instid0(VALU_DEP_2) | instskip(SKIP_2) | instid1(VALU_DEP_1)
	v_add_f64_e32 v[28:29], v[28:29], v[146:147]
	ds_store_b64 v79, v[2:3] offset:4704
	v_add_f64_e32 v[28:29], v[28:29], v[150:151]
	v_add_f64_e32 v[28:29], v[28:29], v[152:153]
	s_delay_alu instid0(VALU_DEP_1) | instskip(NEXT) | instid1(VALU_DEP_1)
	v_add_f64_e32 v[28:29], v[28:29], v[154:155]
	v_add_f64_e32 v[28:29], v[28:29], v[156:157]
	s_delay_alu instid0(VALU_DEP_1) | instskip(NEXT) | instid1(VALU_DEP_1)
	v_add_f64_e32 v[28:29], v[28:29], v[158:159]
	v_add_f64_e32 v[28:29], v[28:29], v[162:163]
	s_delay_alu instid0(VALU_DEP_1)
	v_add_f64_e32 v[28:29], v[28:29], v[168:169]
	ds_store_2addr_b64 v93, v[28:29], v[14:15] offset0:220 offset1:227
.LBB0_18:
	s_wait_alu 0xfffe
	s_or_b32 exec_lo, exec_lo, s1
	s_clause 0xf
	scratch_load_b64 v[4:5], off, off offset:544 th:TH_LOAD_LU
	scratch_load_b64 v[52:53], off, off offset:536 th:TH_LOAD_LU
	;; [unrolled: 1-line block ×16, first 2 shown]
	s_wait_loadcnt 0xf
	v_add_f64_e32 v[2:3], v[190:191], v[4:5]
	s_wait_loadcnt 0xe
	s_delay_alu instid0(VALU_DEP_1) | instskip(SKIP_1) | instid1(VALU_DEP_1)
	v_add_f64_e32 v[2:3], v[2:3], v[52:53]
	s_wait_loadcnt 0xd
	v_add_f64_e32 v[2:3], v[2:3], v[75:76]
	s_wait_loadcnt 0xb
	s_delay_alu instid0(VALU_DEP_1) | instskip(SKIP_1) | instid1(VALU_DEP_1)
	v_add_f64_e32 v[2:3], v[2:3], v[71:72]
	;; [unrolled: 5-line block ×4, first 2 shown]
	s_wait_loadcnt 0x4
	v_add_f64_e32 v[2:3], v[2:3], v[60:61]
	s_delay_alu instid0(VALU_DEP_1) | instskip(NEXT) | instid1(VALU_DEP_1)
	v_add_f64_e32 v[2:3], v[2:3], v[63:64]
	v_add_f64_e32 v[2:3], v[2:3], v[69:70]
	s_delay_alu instid0(VALU_DEP_1) | instskip(SKIP_1) | instid1(VALU_DEP_1)
	v_add_f64_e32 v[2:3], v[2:3], v[73:74]
	s_wait_loadcnt 0x3
	v_add_f64_e32 v[2:3], v[2:3], v[77:78]
	s_wait_loadcnt 0x2
	s_delay_alu instid0(VALU_DEP_1) | instskip(SKIP_1) | instid1(VALU_DEP_1)
	v_add_f64_e32 v[2:3], v[2:3], v[81:82]
	s_wait_loadcnt 0x1
	v_add_f64_e32 v[2:3], v[2:3], v[56:57]
	s_wait_loadcnt 0x0
	s_delay_alu instid0(VALU_DEP_1) | instskip(SKIP_2) | instid1(VALU_DEP_2)
	v_add_f64_e32 v[236:237], v[2:3], v[6:7]
	v_add_f64_e32 v[2:3], v[4:5], v[6:7]
	v_add_f64_e64 v[4:5], v[204:205], -v[42:43]
	v_mul_f64_e32 v[6:7], s[52:53], v[2:3]
	v_mul_f64_e32 v[10:11], s[10:11], v[2:3]
	;; [unrolled: 1-line block ×8, first 2 shown]
	v_fma_f64 v[8:9], v[4:5], s[54:55], v[6:7]
	v_fma_f64 v[6:7], v[4:5], s[50:51], v[6:7]
	;; [unrolled: 1-line block ×16, first 2 shown]
	v_add_f64_e32 v[4:5], v[52:53], v[56:57]
	v_add_f64_e64 v[52:53], v[38:39], -v[202:203]
	scratch_load_b64 v[38:39], off, off offset:568 th:TH_LOAD_LU ; 8-byte Folded Reload
	v_add_f64_e32 v[8:9], v[190:191], v[8:9]
	v_add_f64_e32 v[6:7], v[190:191], v[6:7]
	;; [unrolled: 1-line block ×16, first 2 shown]
	v_mul_f64_e32 v[56:57], s[10:11], v[4:5]
	s_delay_alu instid0(VALU_DEP_1) | instskip(SKIP_1) | instid1(VALU_DEP_2)
	v_fma_f64 v[58:59], v[52:53], s[46:47], v[56:57]
	v_fma_f64 v[56:57], v[52:53], s[4:5], v[56:57]
	v_add_f64_e32 v[8:9], v[58:59], v[8:9]
	s_delay_alu instid0(VALU_DEP_2) | instskip(SKIP_1) | instid1(VALU_DEP_1)
	v_add_f64_e32 v[6:7], v[56:57], v[6:7]
	v_mul_f64_e32 v[56:57], s[14:15], v[4:5]
	v_fma_f64 v[58:59], v[52:53], s[56:57], v[56:57]
	v_fma_f64 v[56:57], v[52:53], s[12:13], v[56:57]
	s_delay_alu instid0(VALU_DEP_2) | instskip(NEXT) | instid1(VALU_DEP_2)
	v_add_f64_e32 v[12:13], v[58:59], v[12:13]
	v_add_f64_e32 v[10:11], v[56:57], v[10:11]
	v_mul_f64_e32 v[56:57], s[24:25], v[4:5]
	s_delay_alu instid0(VALU_DEP_1) | instskip(SKIP_1) | instid1(VALU_DEP_2)
	v_fma_f64 v[58:59], v[52:53], s[58:59], v[56:57]
	v_fma_f64 v[56:57], v[52:53], s[22:23], v[56:57]
	v_add_f64_e32 v[16:17], v[58:59], v[16:17]
	s_delay_alu instid0(VALU_DEP_2) | instskip(SKIP_1) | instid1(VALU_DEP_1)
	v_add_f64_e32 v[14:15], v[56:57], v[14:15]
	v_mul_f64_e32 v[56:57], s[30:31], v[4:5]
	v_fma_f64 v[58:59], v[52:53], s[28:29], v[56:57]
	v_fma_f64 v[56:57], v[52:53], s[26:27], v[56:57]
	s_delay_alu instid0(VALU_DEP_2) | instskip(NEXT) | instid1(VALU_DEP_2)
	v_add_f64_e32 v[20:21], v[58:59], v[20:21]
	v_add_f64_e32 v[18:19], v[56:57], v[18:19]
	;; [unrolled: 13-line block ×3, first 2 shown]
	v_mul_f64_e32 v[56:57], s[20:21], v[4:5]
	v_mul_f64_e32 v[4:5], s[52:53], v[4:5]
	s_delay_alu instid0(VALU_DEP_2) | instskip(SKIP_1) | instid1(VALU_DEP_2)
	v_fma_f64 v[58:59], v[52:53], s[18:19], v[56:57]
	v_fma_f64 v[56:57], v[52:53], s[48:49], v[56:57]
	v_add_f64_e32 v[32:33], v[58:59], v[32:33]
	s_delay_alu instid0(VALU_DEP_2)
	v_add_f64_e32 v[30:31], v[56:57], v[30:31]
	v_fma_f64 v[56:57], v[52:53], s[50:51], v[4:5]
	v_fma_f64 v[4:5], v[52:53], s[54:55], v[4:5]
	s_wait_loadcnt 0x0
	v_add_f64_e64 v[52:53], v[38:39], -v[206:207]
	scratch_load_b64 v[38:39], off, off offset:512 th:TH_LOAD_LU ; 8-byte Folded Reload
	v_add_f64_e32 v[34:35], v[56:57], v[34:35]
	v_add_f64_e32 v[2:3], v[4:5], v[2:3]
	;; [unrolled: 1-line block ×3, first 2 shown]
	s_delay_alu instid0(VALU_DEP_1) | instskip(NEXT) | instid1(VALU_DEP_1)
	v_mul_f64_e32 v[56:57], s[20:21], v[4:5]
	v_fma_f64 v[58:59], v[52:53], s[48:49], v[56:57]
	v_fma_f64 v[56:57], v[52:53], s[18:19], v[56:57]
	s_delay_alu instid0(VALU_DEP_2) | instskip(NEXT) | instid1(VALU_DEP_2)
	v_add_f64_e32 v[8:9], v[58:59], v[8:9]
	v_add_f64_e32 v[6:7], v[56:57], v[6:7]
	v_mul_f64_e32 v[56:57], s[24:25], v[4:5]
	s_delay_alu instid0(VALU_DEP_1) | instskip(SKIP_1) | instid1(VALU_DEP_2)
	v_fma_f64 v[58:59], v[52:53], s[58:59], v[56:57]
	v_fma_f64 v[56:57], v[52:53], s[22:23], v[56:57]
	v_add_f64_e32 v[12:13], v[58:59], v[12:13]
	s_delay_alu instid0(VALU_DEP_2) | instskip(SKIP_1) | instid1(VALU_DEP_1)
	v_add_f64_e32 v[10:11], v[56:57], v[10:11]
	v_mul_f64_e32 v[56:57], s[30:31], v[4:5]
	v_fma_f64 v[58:59], v[52:53], s[26:27], v[56:57]
	v_fma_f64 v[56:57], v[52:53], s[28:29], v[56:57]
	s_delay_alu instid0(VALU_DEP_2) | instskip(NEXT) | instid1(VALU_DEP_2)
	v_add_f64_e32 v[16:17], v[58:59], v[16:17]
	v_add_f64_e32 v[14:15], v[56:57], v[14:15]
	v_mul_f64_e32 v[56:57], s[38:39], v[4:5]
	s_delay_alu instid0(VALU_DEP_1) | instskip(SKIP_1) | instid1(VALU_DEP_2)
	v_fma_f64 v[58:59], v[52:53], s[34:35], v[56:57]
	v_fma_f64 v[56:57], v[52:53], s[36:37], v[56:57]
	v_add_f64_e32 v[20:21], v[58:59], v[20:21]
	s_delay_alu instid0(VALU_DEP_2) | instskip(SKIP_1) | instid1(VALU_DEP_1)
	v_add_f64_e32 v[18:19], v[56:57], v[18:19]
	v_mul_f64_e32 v[56:57], s[10:11], v[4:5]
	v_fma_f64 v[58:59], v[52:53], s[4:5], v[56:57]
	v_fma_f64 v[56:57], v[52:53], s[46:47], v[56:57]
	s_delay_alu instid0(VALU_DEP_2) | instskip(NEXT) | instid1(VALU_DEP_2)
	v_add_f64_e32 v[24:25], v[58:59], v[24:25]
	v_add_f64_e32 v[22:23], v[56:57], v[22:23]
	v_mul_f64_e32 v[56:57], s[52:53], v[4:5]
	s_delay_alu instid0(VALU_DEP_1) | instskip(SKIP_1) | instid1(VALU_DEP_2)
	v_fma_f64 v[58:59], v[52:53], s[54:55], v[56:57]
	v_fma_f64 v[56:57], v[52:53], s[50:51], v[56:57]
	v_add_f64_e32 v[28:29], v[58:59], v[28:29]
	s_delay_alu instid0(VALU_DEP_2) | instskip(SKIP_2) | instid1(VALU_DEP_2)
	v_add_f64_e32 v[26:27], v[56:57], v[26:27]
	v_mul_f64_e32 v[56:57], s[14:15], v[4:5]
	v_mul_f64_e32 v[4:5], s[42:43], v[4:5]
	v_fma_f64 v[58:59], v[52:53], s[56:57], v[56:57]
	v_fma_f64 v[56:57], v[52:53], s[12:13], v[56:57]
	s_delay_alu instid0(VALU_DEP_2) | instskip(NEXT) | instid1(VALU_DEP_2)
	v_add_f64_e32 v[32:33], v[58:59], v[32:33]
	v_add_f64_e32 v[30:31], v[56:57], v[30:31]
	v_fma_f64 v[56:57], v[52:53], s[44:45], v[4:5]
	v_fma_f64 v[4:5], v[52:53], s[40:41], v[4:5]
	v_add_f64_e64 v[52:53], v[224:225], -v[212:213]
	s_delay_alu instid0(VALU_DEP_3) | instskip(NEXT) | instid1(VALU_DEP_3)
	v_add_f64_e32 v[34:35], v[56:57], v[34:35]
	v_add_f64_e32 v[2:3], v[4:5], v[2:3]
	;; [unrolled: 1-line block ×3, first 2 shown]
	scratch_load_b64 v[71:72], off, off offset:368 th:TH_LOAD_LU ; 8-byte Folded Reload
	v_mul_f64_e32 v[56:57], s[14:15], v[4:5]
	s_delay_alu instid0(VALU_DEP_1) | instskip(SKIP_1) | instid1(VALU_DEP_2)
	v_fma_f64 v[58:59], v[52:53], s[56:57], v[56:57]
	v_fma_f64 v[56:57], v[52:53], s[12:13], v[56:57]
	v_add_f64_e32 v[8:9], v[58:59], v[8:9]
	s_delay_alu instid0(VALU_DEP_2) | instskip(SKIP_1) | instid1(VALU_DEP_1)
	v_add_f64_e32 v[6:7], v[56:57], v[6:7]
	v_mul_f64_e32 v[56:57], s[30:31], v[4:5]
	v_fma_f64 v[58:59], v[52:53], s[28:29], v[56:57]
	v_fma_f64 v[56:57], v[52:53], s[26:27], v[56:57]
	s_delay_alu instid0(VALU_DEP_2) | instskip(NEXT) | instid1(VALU_DEP_2)
	v_add_f64_e32 v[12:13], v[58:59], v[12:13]
	v_add_f64_e32 v[10:11], v[56:57], v[10:11]
	v_mul_f64_e32 v[56:57], s[38:39], v[4:5]
	s_delay_alu instid0(VALU_DEP_1) | instskip(SKIP_1) | instid1(VALU_DEP_2)
	v_fma_f64 v[58:59], v[52:53], s[34:35], v[56:57]
	v_fma_f64 v[56:57], v[52:53], s[36:37], v[56:57]
	v_add_f64_e32 v[16:17], v[58:59], v[16:17]
	s_delay_alu instid0(VALU_DEP_2) | instskip(SKIP_1) | instid1(VALU_DEP_1)
	v_add_f64_e32 v[14:15], v[56:57], v[14:15]
	v_mul_f64_e32 v[56:57], s[52:53], v[4:5]
	v_fma_f64 v[58:59], v[52:53], s[50:51], v[56:57]
	v_fma_f64 v[56:57], v[52:53], s[54:55], v[56:57]
	s_delay_alu instid0(VALU_DEP_2) | instskip(NEXT) | instid1(VALU_DEP_2)
	v_add_f64_e32 v[20:21], v[58:59], v[20:21]
	v_add_f64_e32 v[18:19], v[56:57], v[18:19]
	;; [unrolled: 13-line block ×3, first 2 shown]
	v_mul_f64_e32 v[56:57], s[24:25], v[4:5]
	v_mul_f64_e32 v[4:5], s[10:11], v[4:5]
	s_delay_alu instid0(VALU_DEP_2) | instskip(SKIP_1) | instid1(VALU_DEP_2)
	v_fma_f64 v[58:59], v[52:53], s[22:23], v[56:57]
	v_fma_f64 v[56:57], v[52:53], s[58:59], v[56:57]
	v_add_f64_e32 v[32:33], v[58:59], v[32:33]
	s_delay_alu instid0(VALU_DEP_2) | instskip(SKIP_3) | instid1(VALU_DEP_3)
	v_add_f64_e32 v[30:31], v[56:57], v[30:31]
	v_fma_f64 v[56:57], v[52:53], s[4:5], v[4:5]
	v_fma_f64 v[4:5], v[52:53], s[46:47], v[4:5]
	v_add_f64_e64 v[52:53], v[220:221], -v[216:217]
	v_add_f64_e32 v[34:35], v[56:57], v[34:35]
	s_delay_alu instid0(VALU_DEP_3)
	v_add_f64_e32 v[2:3], v[4:5], v[2:3]
	v_add_f64_e32 v[4:5], v[67:68], v[73:74]
	s_clause 0x1
	scratch_load_b64 v[73:74], off, off offset:376 th:TH_LOAD_LU
	scratch_load_b64 v[67:68], off, off offset:344 th:TH_LOAD_LU
	v_mul_f64_e32 v[56:57], s[38:39], v[4:5]
	s_delay_alu instid0(VALU_DEP_1) | instskip(SKIP_1) | instid1(VALU_DEP_2)
	v_fma_f64 v[58:59], v[52:53], s[36:37], v[56:57]
	v_fma_f64 v[56:57], v[52:53], s[34:35], v[56:57]
	v_add_f64_e32 v[8:9], v[58:59], v[8:9]
	s_delay_alu instid0(VALU_DEP_2) | instskip(SKIP_1) | instid1(VALU_DEP_1)
	v_add_f64_e32 v[6:7], v[56:57], v[6:7]
	v_mul_f64_e32 v[56:57], s[42:43], v[4:5]
	v_fma_f64 v[58:59], v[52:53], s[40:41], v[56:57]
	v_fma_f64 v[56:57], v[52:53], s[44:45], v[56:57]
	s_delay_alu instid0(VALU_DEP_2) | instskip(NEXT) | instid1(VALU_DEP_2)
	v_add_f64_e32 v[12:13], v[58:59], v[12:13]
	v_add_f64_e32 v[10:11], v[56:57], v[10:11]
	v_mul_f64_e32 v[56:57], s[10:11], v[4:5]
	s_delay_alu instid0(VALU_DEP_1) | instskip(SKIP_1) | instid1(VALU_DEP_2)
	v_fma_f64 v[58:59], v[52:53], s[4:5], v[56:57]
	v_fma_f64 v[56:57], v[52:53], s[46:47], v[56:57]
	v_add_f64_e32 v[16:17], v[58:59], v[16:17]
	s_delay_alu instid0(VALU_DEP_2) | instskip(SKIP_1) | instid1(VALU_DEP_1)
	v_add_f64_e32 v[14:15], v[56:57], v[14:15]
	v_mul_f64_e32 v[56:57], s[20:21], v[4:5]
	v_fma_f64 v[58:59], v[52:53], s[48:49], v[56:57]
	v_fma_f64 v[56:57], v[52:53], s[18:19], v[56:57]
	s_delay_alu instid0(VALU_DEP_2) | instskip(NEXT) | instid1(VALU_DEP_2)
	v_add_f64_e32 v[20:21], v[58:59], v[20:21]
	v_add_f64_e32 v[18:19], v[56:57], v[18:19]
	;; [unrolled: 13-line block ×3, first 2 shown]
	v_mul_f64_e32 v[56:57], s[52:53], v[4:5]
	v_mul_f64_e32 v[4:5], s[24:25], v[4:5]
	s_delay_alu instid0(VALU_DEP_2) | instskip(SKIP_1) | instid1(VALU_DEP_2)
	v_fma_f64 v[58:59], v[52:53], s[54:55], v[56:57]
	v_fma_f64 v[56:57], v[52:53], s[50:51], v[56:57]
	v_add_f64_e32 v[32:33], v[58:59], v[32:33]
	s_delay_alu instid0(VALU_DEP_2) | instskip(SKIP_4) | instid1(VALU_DEP_3)
	v_add_f64_e32 v[30:31], v[56:57], v[30:31]
	v_fma_f64 v[56:57], v[52:53], s[58:59], v[4:5]
	v_fma_f64 v[4:5], v[52:53], s[22:23], v[4:5]
	s_wait_loadcnt 0x3
	v_add_f64_e64 v[52:53], v[38:39], -v[210:211]
	v_add_f64_e32 v[34:35], v[56:57], v[34:35]
	s_delay_alu instid0(VALU_DEP_3)
	v_add_f64_e32 v[2:3], v[4:5], v[2:3]
	v_add_f64_e32 v[4:5], v[65:66], v[69:70]
	s_clause 0x1
	scratch_load_b64 v[65:66], off, off offset:336 th:TH_LOAD_LU
	scratch_load_b64 v[69:70], off, off offset:360 th:TH_LOAD_LU
	v_mul_f64_e32 v[56:57], s[24:25], v[4:5]
	s_delay_alu instid0(VALU_DEP_1) | instskip(SKIP_1) | instid1(VALU_DEP_2)
	v_fma_f64 v[58:59], v[52:53], s[58:59], v[56:57]
	v_fma_f64 v[56:57], v[52:53], s[22:23], v[56:57]
	v_add_f64_e32 v[8:9], v[58:59], v[8:9]
	s_delay_alu instid0(VALU_DEP_2) | instskip(SKIP_1) | instid1(VALU_DEP_1)
	v_add_f64_e32 v[6:7], v[56:57], v[6:7]
	v_mul_f64_e32 v[56:57], s[38:39], v[4:5]
	v_fma_f64 v[58:59], v[52:53], s[34:35], v[56:57]
	v_fma_f64 v[56:57], v[52:53], s[36:37], v[56:57]
	s_delay_alu instid0(VALU_DEP_2) | instskip(NEXT) | instid1(VALU_DEP_2)
	v_add_f64_e32 v[12:13], v[58:59], v[12:13]
	v_add_f64_e32 v[10:11], v[56:57], v[10:11]
	v_mul_f64_e32 v[56:57], s[52:53], v[4:5]
	s_delay_alu instid0(VALU_DEP_1) | instskip(SKIP_1) | instid1(VALU_DEP_2)
	v_fma_f64 v[58:59], v[52:53], s[54:55], v[56:57]
	v_fma_f64 v[56:57], v[52:53], s[50:51], v[56:57]
	v_add_f64_e32 v[16:17], v[58:59], v[16:17]
	s_delay_alu instid0(VALU_DEP_2) | instskip(SKIP_1) | instid1(VALU_DEP_1)
	v_add_f64_e32 v[14:15], v[56:57], v[14:15]
	v_mul_f64_e32 v[56:57], s[42:43], v[4:5]
	v_fma_f64 v[58:59], v[52:53], s[44:45], v[56:57]
	v_fma_f64 v[56:57], v[52:53], s[40:41], v[56:57]
	s_delay_alu instid0(VALU_DEP_2) | instskip(NEXT) | instid1(VALU_DEP_2)
	v_add_f64_e32 v[20:21], v[58:59], v[20:21]
	v_add_f64_e32 v[18:19], v[56:57], v[18:19]
	;; [unrolled: 13-line block ×3, first 2 shown]
	v_mul_f64_e32 v[56:57], s[30:31], v[4:5]
	v_mul_f64_e32 v[4:5], s[20:21], v[4:5]
	s_delay_alu instid0(VALU_DEP_2) | instskip(SKIP_1) | instid1(VALU_DEP_2)
	v_fma_f64 v[58:59], v[52:53], s[28:29], v[56:57]
	v_fma_f64 v[56:57], v[52:53], s[26:27], v[56:57]
	v_add_f64_e32 v[32:33], v[58:59], v[32:33]
	s_delay_alu instid0(VALU_DEP_2) | instskip(SKIP_2) | instid1(VALU_DEP_2)
	v_add_f64_e32 v[30:31], v[56:57], v[30:31]
	v_fma_f64 v[56:57], v[52:53], s[18:19], v[4:5]
	v_fma_f64 v[4:5], v[52:53], s[48:49], v[4:5]
	v_add_f64_e32 v[34:35], v[56:57], v[34:35]
	s_delay_alu instid0(VALU_DEP_2)
	v_add_f64_e32 v[2:3], v[4:5], v[2:3]
	v_add_f64_e32 v[4:5], v[48:49], v[63:64]
	s_clause 0x1
	scratch_load_b64 v[48:49], off, off offset:440 th:TH_LOAD_LU
	scratch_load_b64 v[63:64], off, off offset:328 th:TH_LOAD_LU
	v_mul_f64_e32 v[56:57], s[42:43], v[4:5]
	s_wait_loadcnt 0x1
	v_add_f64_e64 v[52:53], v[48:49], -v[160:161]
	scratch_load_b64 v[48:49], off, off offset:400 th:TH_LOAD_LU ; 8-byte Folded Reload
	v_fma_f64 v[58:59], v[52:53], s[44:45], v[56:57]
	v_fma_f64 v[56:57], v[52:53], s[40:41], v[56:57]
	s_delay_alu instid0(VALU_DEP_2) | instskip(NEXT) | instid1(VALU_DEP_2)
	v_add_f64_e32 v[8:9], v[58:59], v[8:9]
	v_add_f64_e32 v[6:7], v[56:57], v[6:7]
	v_mul_f64_e32 v[56:57], s[20:21], v[4:5]
	s_delay_alu instid0(VALU_DEP_1) | instskip(SKIP_1) | instid1(VALU_DEP_2)
	v_fma_f64 v[58:59], v[52:53], s[18:19], v[56:57]
	v_fma_f64 v[56:57], v[52:53], s[48:49], v[56:57]
	v_add_f64_e32 v[12:13], v[58:59], v[12:13]
	s_delay_alu instid0(VALU_DEP_2) | instskip(SKIP_1) | instid1(VALU_DEP_1)
	v_add_f64_e32 v[10:11], v[56:57], v[10:11]
	v_mul_f64_e32 v[56:57], s[14:15], v[4:5]
	v_fma_f64 v[58:59], v[52:53], s[56:57], v[56:57]
	v_fma_f64 v[56:57], v[52:53], s[12:13], v[56:57]
	s_delay_alu instid0(VALU_DEP_2) | instskip(NEXT) | instid1(VALU_DEP_2)
	v_add_f64_e32 v[16:17], v[58:59], v[16:17]
	v_add_f64_e32 v[14:15], v[56:57], v[14:15]
	v_mul_f64_e32 v[56:57], s[24:25], v[4:5]
	s_delay_alu instid0(VALU_DEP_1) | instskip(SKIP_1) | instid1(VALU_DEP_2)
	v_fma_f64 v[58:59], v[52:53], s[22:23], v[56:57]
	v_fma_f64 v[56:57], v[52:53], s[58:59], v[56:57]
	v_add_f64_e32 v[20:21], v[58:59], v[20:21]
	s_delay_alu instid0(VALU_DEP_2) | instskip(SKIP_1) | instid1(VALU_DEP_1)
	v_add_f64_e32 v[18:19], v[56:57], v[18:19]
	v_mul_f64_e32 v[56:57], s[52:53], v[4:5]
	v_fma_f64 v[58:59], v[52:53], s[54:55], v[56:57]
	v_fma_f64 v[56:57], v[52:53], s[50:51], v[56:57]
	s_delay_alu instid0(VALU_DEP_2) | instskip(NEXT) | instid1(VALU_DEP_2)
	v_add_f64_e32 v[24:25], v[58:59], v[24:25]
	v_add_f64_e32 v[22:23], v[56:57], v[22:23]
	v_mul_f64_e32 v[56:57], s[30:31], v[4:5]
	s_delay_alu instid0(VALU_DEP_1) | instskip(SKIP_1) | instid1(VALU_DEP_2)
	v_fma_f64 v[58:59], v[52:53], s[28:29], v[56:57]
	v_fma_f64 v[56:57], v[52:53], s[26:27], v[56:57]
	v_add_f64_e32 v[28:29], v[58:59], v[28:29]
	s_delay_alu instid0(VALU_DEP_2) | instskip(SKIP_2) | instid1(VALU_DEP_2)
	v_add_f64_e32 v[26:27], v[56:57], v[26:27]
	v_mul_f64_e32 v[56:57], s[10:11], v[4:5]
	v_mul_f64_e32 v[4:5], s[38:39], v[4:5]
	v_fma_f64 v[58:59], v[52:53], s[4:5], v[56:57]
	v_fma_f64 v[56:57], v[52:53], s[46:47], v[56:57]
	s_delay_alu instid0(VALU_DEP_2) | instskip(NEXT) | instid1(VALU_DEP_2)
	v_add_f64_e32 v[32:33], v[58:59], v[32:33]
	v_add_f64_e32 v[30:31], v[56:57], v[30:31]
	v_fma_f64 v[56:57], v[52:53], s[36:37], v[4:5]
	v_fma_f64 v[4:5], v[52:53], s[34:35], v[4:5]
	s_delay_alu instid0(VALU_DEP_2) | instskip(NEXT) | instid1(VALU_DEP_2)
	v_add_f64_e32 v[34:35], v[56:57], v[34:35]
	v_add_f64_e32 v[2:3], v[4:5], v[2:3]
	;; [unrolled: 1-line block ×3, first 2 shown]
	s_clause 0x1
	scratch_load_b64 v[44:45], off, off offset:424 th:TH_LOAD_LU
	scratch_load_b64 v[60:61], off, off offset:320 th:TH_LOAD_LU
	v_mul_f64_e32 v[56:57], s[30:31], v[4:5]
	s_wait_loadcnt 0x1
	v_add_f64_e64 v[52:53], v[44:45], -v[166:167]
	scratch_load_b64 v[44:45], off, off offset:416 th:TH_LOAD_LU ; 8-byte Folded Reload
	v_fma_f64 v[58:59], v[52:53], s[28:29], v[56:57]
	s_delay_alu instid0(VALU_DEP_1)
	v_add_f64_e32 v[192:193], v[58:59], v[8:9]
	scratch_load_b64 v[58:59], off, off offset:304 th:TH_LOAD_LU ; 8-byte Folded Reload
	v_fma_f64 v[8:9], v[52:53], s[26:27], v[56:57]
	scratch_load_b64 v[56:57], off, off offset:288 th:TH_LOAD_LU ; 8-byte Folded Reload
	v_add_f64_e32 v[168:169], v[8:9], v[6:7]
	v_mul_f64_e32 v[6:7], s[52:53], v[4:5]
	s_delay_alu instid0(VALU_DEP_1) | instskip(SKIP_1) | instid1(VALU_DEP_2)
	v_fma_f64 v[8:9], v[52:53], s[50:51], v[6:7]
	v_fma_f64 v[6:7], v[52:53], s[54:55], v[6:7]
	v_add_f64_e32 v[198:199], v[8:9], v[12:13]
	s_delay_alu instid0(VALU_DEP_2) | instskip(SKIP_1) | instid1(VALU_DEP_1)
	v_add_f64_e32 v[172:173], v[6:7], v[10:11]
	v_mul_f64_e32 v[6:7], s[42:43], v[4:5]
	v_fma_f64 v[8:9], v[52:53], s[44:45], v[6:7]
	v_fma_f64 v[6:7], v[52:53], s[40:41], v[6:7]
	s_delay_alu instid0(VALU_DEP_2) | instskip(NEXT) | instid1(VALU_DEP_2)
	v_add_f64_e32 v[200:201], v[8:9], v[16:17]
	v_add_f64_e32 v[174:175], v[6:7], v[14:15]
	v_mul_f64_e32 v[6:7], s[10:11], v[4:5]
	s_delay_alu instid0(VALU_DEP_1) | instskip(SKIP_1) | instid1(VALU_DEP_2)
	v_fma_f64 v[8:9], v[52:53], s[4:5], v[6:7]
	v_fma_f64 v[6:7], v[52:53], s[46:47], v[6:7]
	v_add_f64_e32 v[194:195], v[8:9], v[20:21]
	s_delay_alu instid0(VALU_DEP_2) | instskip(SKIP_1) | instid1(VALU_DEP_1)
	v_add_f64_e32 v[176:177], v[6:7], v[18:19]
	v_mul_f64_e32 v[6:7], s[24:25], v[4:5]
	v_fma_f64 v[8:9], v[52:53], s[58:59], v[6:7]
	v_fma_f64 v[6:7], v[52:53], s[22:23], v[6:7]
	s_delay_alu instid0(VALU_DEP_2) | instskip(NEXT) | instid1(VALU_DEP_2)
	v_add_f64_e32 v[196:197], v[8:9], v[24:25]
	v_add_f64_e32 v[178:179], v[6:7], v[22:23]
	v_mul_f64_e32 v[6:7], s[20:21], v[4:5]
	s_delay_alu instid0(VALU_DEP_1) | instskip(SKIP_1) | instid1(VALU_DEP_2)
	v_fma_f64 v[8:9], v[52:53], s[18:19], v[6:7]
	v_fma_f64 v[6:7], v[52:53], s[48:49], v[6:7]
	v_add_f64_e32 v[188:189], v[8:9], v[28:29]
	s_delay_alu instid0(VALU_DEP_2) | instskip(SKIP_2) | instid1(VALU_DEP_2)
	v_add_f64_e32 v[180:181], v[6:7], v[26:27]
	v_mul_f64_e32 v[6:7], s[38:39], v[4:5]
	v_mul_f64_e32 v[4:5], s[14:15], v[4:5]
	v_fma_f64 v[8:9], v[52:53], s[36:37], v[6:7]
	v_fma_f64 v[6:7], v[52:53], s[34:35], v[6:7]
	s_delay_alu instid0(VALU_DEP_2) | instskip(NEXT) | instid1(VALU_DEP_2)
	v_add_f64_e32 v[190:191], v[8:9], v[32:33]
	v_add_f64_e32 v[182:183], v[6:7], v[30:31]
	v_fma_f64 v[6:7], v[52:53], s[12:13], v[4:5]
	v_fma_f64 v[4:5], v[52:53], s[56:57], v[4:5]
	scratch_load_b64 v[52:53], off, off offset:280 th:TH_LOAD_LU ; 8-byte Folded Reload
	v_add_f64_e32 v[184:185], v[6:7], v[34:35]
	v_add_f64_e32 v[186:187], v[4:5], v[2:3]
	scratch_load_b64 v[4:5], off, off offset:352 th:TH_LOAD_LU ; 8-byte Folded Reload
	s_wait_loadcnt 0x0
	v_add_f64_e32 v[2:3], v[164:165], v[4:5]
	s_delay_alu instid0(VALU_DEP_1) | instskip(NEXT) | instid1(VALU_DEP_1)
	v_add_f64_e32 v[2:3], v[2:3], v[65:66]
	v_add_f64_e32 v[2:3], v[2:3], v[60:61]
	s_delay_alu instid0(VALU_DEP_1) | instskip(NEXT) | instid1(VALU_DEP_1)
	v_add_f64_e32 v[2:3], v[2:3], v[56:57]
	;; [unrolled: 3-line block ×7, first 2 shown]
	v_add_f64_e32 v[2:3], v[2:3], v[40:41]
	s_delay_alu instid0(VALU_DEP_1) | instskip(SKIP_3) | instid1(VALU_DEP_3)
	v_add_f64_e32 v[170:171], v[2:3], v[36:37]
	v_add_f64_e32 v[2:3], v[4:5], v[36:37]
	v_add_f64_e64 v[4:5], v[214:215], -v[208:209]
	v_add_f64_e64 v[36:37], v[50:51], -v[218:219]
	v_mul_f64_e32 v[6:7], s[52:53], v[2:3]
	v_mul_f64_e32 v[10:11], s[10:11], v[2:3]
	;; [unrolled: 1-line block ×8, first 2 shown]
	v_fma_f64 v[8:9], v[4:5], s[54:55], v[6:7]
	v_fma_f64 v[6:7], v[4:5], s[50:51], v[6:7]
	;; [unrolled: 1-line block ×16, first 2 shown]
	v_add_f64_e32 v[4:5], v[65:66], v[40:41]
	v_add_f64_e32 v[8:9], v[164:165], v[8:9]
	;; [unrolled: 1-line block ×17, first 2 shown]
	v_mul_f64_e32 v[38:39], s[10:11], v[4:5]
	s_delay_alu instid0(VALU_DEP_1) | instskip(SKIP_1) | instid1(VALU_DEP_2)
	v_fma_f64 v[40:41], v[36:37], s[46:47], v[38:39]
	v_fma_f64 v[38:39], v[36:37], s[4:5], v[38:39]
	v_add_f64_e32 v[8:9], v[40:41], v[8:9]
	s_delay_alu instid0(VALU_DEP_2) | instskip(SKIP_1) | instid1(VALU_DEP_1)
	v_add_f64_e32 v[6:7], v[38:39], v[6:7]
	v_mul_f64_e32 v[38:39], s[14:15], v[4:5]
	v_fma_f64 v[40:41], v[36:37], s[56:57], v[38:39]
	v_fma_f64 v[38:39], v[36:37], s[12:13], v[38:39]
	s_delay_alu instid0(VALU_DEP_2) | instskip(NEXT) | instid1(VALU_DEP_2)
	v_add_f64_e32 v[12:13], v[40:41], v[12:13]
	v_add_f64_e32 v[10:11], v[38:39], v[10:11]
	v_mul_f64_e32 v[38:39], s[24:25], v[4:5]
	s_delay_alu instid0(VALU_DEP_1) | instskip(SKIP_1) | instid1(VALU_DEP_2)
	v_fma_f64 v[40:41], v[36:37], s[58:59], v[38:39]
	v_fma_f64 v[38:39], v[36:37], s[22:23], v[38:39]
	v_add_f64_e32 v[16:17], v[40:41], v[16:17]
	s_delay_alu instid0(VALU_DEP_2) | instskip(SKIP_1) | instid1(VALU_DEP_1)
	v_add_f64_e32 v[14:15], v[38:39], v[14:15]
	v_mul_f64_e32 v[38:39], s[30:31], v[4:5]
	v_fma_f64 v[40:41], v[36:37], s[28:29], v[38:39]
	v_fma_f64 v[38:39], v[36:37], s[26:27], v[38:39]
	s_delay_alu instid0(VALU_DEP_2) | instskip(NEXT) | instid1(VALU_DEP_2)
	v_add_f64_e32 v[20:21], v[40:41], v[20:21]
	v_add_f64_e32 v[18:19], v[38:39], v[18:19]
	;; [unrolled: 13-line block ×3, first 2 shown]
	v_mul_f64_e32 v[38:39], s[20:21], v[4:5]
	v_mul_f64_e32 v[4:5], s[52:53], v[4:5]
	s_delay_alu instid0(VALU_DEP_2) | instskip(SKIP_1) | instid1(VALU_DEP_2)
	v_fma_f64 v[40:41], v[36:37], s[18:19], v[38:39]
	v_fma_f64 v[38:39], v[36:37], s[48:49], v[38:39]
	v_add_f64_e32 v[32:33], v[40:41], v[32:33]
	s_delay_alu instid0(VALU_DEP_2)
	v_add_f64_e32 v[30:31], v[38:39], v[30:31]
	v_fma_f64 v[38:39], v[36:37], s[50:51], v[4:5]
	v_fma_f64 v[4:5], v[36:37], s[54:55], v[4:5]
	v_add_f64_e64 v[36:37], v[54:55], -v[46:47]
	v_add_nc_u32_e32 v54, 0x800, v239
	v_add_nc_u32_e32 v55, 0x1000, v239
	v_add_f64_e32 v[34:35], v[38:39], v[34:35]
	v_add_f64_e32 v[2:3], v[4:5], v[2:3]
	;; [unrolled: 1-line block ×3, first 2 shown]
	s_delay_alu instid0(VALU_DEP_1) | instskip(NEXT) | instid1(VALU_DEP_1)
	v_mul_f64_e32 v[38:39], s[20:21], v[4:5]
	v_fma_f64 v[40:41], v[36:37], s[48:49], v[38:39]
	v_fma_f64 v[38:39], v[36:37], s[18:19], v[38:39]
	s_delay_alu instid0(VALU_DEP_2) | instskip(NEXT) | instid1(VALU_DEP_2)
	v_add_f64_e32 v[8:9], v[40:41], v[8:9]
	v_add_f64_e32 v[6:7], v[38:39], v[6:7]
	v_mul_f64_e32 v[38:39], s[24:25], v[4:5]
	s_delay_alu instid0(VALU_DEP_1) | instskip(SKIP_1) | instid1(VALU_DEP_2)
	v_fma_f64 v[40:41], v[36:37], s[58:59], v[38:39]
	v_fma_f64 v[38:39], v[36:37], s[22:23], v[38:39]
	v_add_f64_e32 v[12:13], v[40:41], v[12:13]
	s_delay_alu instid0(VALU_DEP_2) | instskip(SKIP_1) | instid1(VALU_DEP_1)
	v_add_f64_e32 v[10:11], v[38:39], v[10:11]
	v_mul_f64_e32 v[38:39], s[30:31], v[4:5]
	v_fma_f64 v[40:41], v[36:37], s[26:27], v[38:39]
	v_fma_f64 v[38:39], v[36:37], s[28:29], v[38:39]
	s_delay_alu instid0(VALU_DEP_2) | instskip(NEXT) | instid1(VALU_DEP_2)
	v_add_f64_e32 v[16:17], v[40:41], v[16:17]
	v_add_f64_e32 v[14:15], v[38:39], v[14:15]
	v_mul_f64_e32 v[38:39], s[38:39], v[4:5]
	s_delay_alu instid0(VALU_DEP_1) | instskip(SKIP_1) | instid1(VALU_DEP_2)
	v_fma_f64 v[40:41], v[36:37], s[34:35], v[38:39]
	v_fma_f64 v[38:39], v[36:37], s[36:37], v[38:39]
	v_add_f64_e32 v[20:21], v[40:41], v[20:21]
	s_delay_alu instid0(VALU_DEP_2) | instskip(SKIP_1) | instid1(VALU_DEP_1)
	v_add_f64_e32 v[18:19], v[38:39], v[18:19]
	v_mul_f64_e32 v[38:39], s[10:11], v[4:5]
	v_fma_f64 v[40:41], v[36:37], s[4:5], v[38:39]
	v_fma_f64 v[38:39], v[36:37], s[46:47], v[38:39]
	s_delay_alu instid0(VALU_DEP_2) | instskip(NEXT) | instid1(VALU_DEP_2)
	v_add_f64_e32 v[24:25], v[40:41], v[24:25]
	v_add_f64_e32 v[22:23], v[38:39], v[22:23]
	v_mul_f64_e32 v[38:39], s[52:53], v[4:5]
	s_delay_alu instid0(VALU_DEP_1) | instskip(SKIP_1) | instid1(VALU_DEP_2)
	v_fma_f64 v[40:41], v[36:37], s[54:55], v[38:39]
	v_fma_f64 v[38:39], v[36:37], s[50:51], v[38:39]
	v_add_f64_e32 v[28:29], v[40:41], v[28:29]
	s_delay_alu instid0(VALU_DEP_2) | instskip(SKIP_2) | instid1(VALU_DEP_2)
	v_add_f64_e32 v[26:27], v[38:39], v[26:27]
	v_mul_f64_e32 v[38:39], s[14:15], v[4:5]
	v_mul_f64_e32 v[4:5], s[42:43], v[4:5]
	v_fma_f64 v[40:41], v[36:37], s[56:57], v[38:39]
	v_fma_f64 v[38:39], v[36:37], s[12:13], v[38:39]
	s_delay_alu instid0(VALU_DEP_2) | instskip(NEXT) | instid1(VALU_DEP_2)
	v_add_f64_e32 v[32:33], v[40:41], v[32:33]
	v_add_f64_e32 v[30:31], v[38:39], v[30:31]
	v_fma_f64 v[38:39], v[36:37], s[44:45], v[4:5]
	v_fma_f64 v[4:5], v[36:37], s[40:41], v[4:5]
	scratch_load_b64 v[36:37], off, off offset:480 th:TH_LOAD_LU ; 8-byte Folded Reload
	v_add_f64_e32 v[34:35], v[38:39], v[34:35]
	v_add_f64_e32 v[2:3], v[4:5], v[2:3]
	;; [unrolled: 1-line block ×3, first 2 shown]
	s_delay_alu instid0(VALU_DEP_1) | instskip(SKIP_2) | instid1(VALU_DEP_1)
	v_mul_f64_e32 v[38:39], s[14:15], v[4:5]
	s_wait_loadcnt 0x0
	v_add_f64_e64 v[36:37], v[132:133], -v[36:37]
	v_fma_f64 v[40:41], v[36:37], s[56:57], v[38:39]
	v_fma_f64 v[38:39], v[36:37], s[12:13], v[38:39]
	s_delay_alu instid0(VALU_DEP_2) | instskip(NEXT) | instid1(VALU_DEP_2)
	v_add_f64_e32 v[8:9], v[40:41], v[8:9]
	v_add_f64_e32 v[6:7], v[38:39], v[6:7]
	v_mul_f64_e32 v[38:39], s[30:31], v[4:5]
	s_delay_alu instid0(VALU_DEP_1) | instskip(SKIP_1) | instid1(VALU_DEP_2)
	v_fma_f64 v[40:41], v[36:37], s[28:29], v[38:39]
	v_fma_f64 v[38:39], v[36:37], s[26:27], v[38:39]
	v_add_f64_e32 v[12:13], v[40:41], v[12:13]
	s_delay_alu instid0(VALU_DEP_2) | instskip(SKIP_1) | instid1(VALU_DEP_1)
	v_add_f64_e32 v[10:11], v[38:39], v[10:11]
	v_mul_f64_e32 v[38:39], s[38:39], v[4:5]
	v_fma_f64 v[40:41], v[36:37], s[34:35], v[38:39]
	v_fma_f64 v[38:39], v[36:37], s[36:37], v[38:39]
	s_delay_alu instid0(VALU_DEP_2) | instskip(NEXT) | instid1(VALU_DEP_2)
	v_add_f64_e32 v[16:17], v[40:41], v[16:17]
	v_add_f64_e32 v[14:15], v[38:39], v[14:15]
	v_mul_f64_e32 v[38:39], s[52:53], v[4:5]
	s_delay_alu instid0(VALU_DEP_1) | instskip(SKIP_1) | instid1(VALU_DEP_2)
	v_fma_f64 v[40:41], v[36:37], s[50:51], v[38:39]
	v_fma_f64 v[38:39], v[36:37], s[54:55], v[38:39]
	v_add_f64_e32 v[20:21], v[40:41], v[20:21]
	s_delay_alu instid0(VALU_DEP_2) | instskip(SKIP_1) | instid1(VALU_DEP_1)
	v_add_f64_e32 v[18:19], v[38:39], v[18:19]
	v_mul_f64_e32 v[38:39], s[20:21], v[4:5]
	v_fma_f64 v[40:41], v[36:37], s[48:49], v[38:39]
	v_fma_f64 v[38:39], v[36:37], s[18:19], v[38:39]
	s_delay_alu instid0(VALU_DEP_2) | instskip(NEXT) | instid1(VALU_DEP_2)
	v_add_f64_e32 v[24:25], v[40:41], v[24:25]
	v_add_f64_e32 v[22:23], v[38:39], v[22:23]
	v_mul_f64_e32 v[38:39], s[42:43], v[4:5]
	s_delay_alu instid0(VALU_DEP_1) | instskip(SKIP_1) | instid1(VALU_DEP_2)
	v_fma_f64 v[40:41], v[36:37], s[44:45], v[38:39]
	v_fma_f64 v[38:39], v[36:37], s[40:41], v[38:39]
	v_add_f64_e32 v[28:29], v[40:41], v[28:29]
	s_delay_alu instid0(VALU_DEP_2) | instskip(SKIP_2) | instid1(VALU_DEP_2)
	v_add_f64_e32 v[26:27], v[38:39], v[26:27]
	v_mul_f64_e32 v[38:39], s[24:25], v[4:5]
	v_mul_f64_e32 v[4:5], s[10:11], v[4:5]
	v_fma_f64 v[40:41], v[36:37], s[22:23], v[38:39]
	v_fma_f64 v[38:39], v[36:37], s[58:59], v[38:39]
	s_delay_alu instid0(VALU_DEP_2) | instskip(NEXT) | instid1(VALU_DEP_2)
	v_add_f64_e32 v[32:33], v[40:41], v[32:33]
	v_add_f64_e32 v[30:31], v[38:39], v[30:31]
	v_fma_f64 v[38:39], v[36:37], s[4:5], v[4:5]
	v_fma_f64 v[4:5], v[36:37], s[46:47], v[4:5]
	scratch_load_b64 v[36:37], off, off offset:408 th:TH_LOAD_LU ; 8-byte Folded Reload
	v_add_f64_e32 v[34:35], v[38:39], v[34:35]
	v_add_f64_e32 v[2:3], v[4:5], v[2:3]
	;; [unrolled: 1-line block ×3, first 2 shown]
	s_delay_alu instid0(VALU_DEP_1) | instskip(SKIP_2) | instid1(VALU_DEP_1)
	v_mul_f64_e32 v[38:39], s[38:39], v[4:5]
	s_wait_loadcnt 0x0
	v_add_f64_e64 v[36:37], v[222:223], -v[36:37]
	v_fma_f64 v[40:41], v[36:37], s[36:37], v[38:39]
	v_fma_f64 v[38:39], v[36:37], s[34:35], v[38:39]
	s_delay_alu instid0(VALU_DEP_2) | instskip(NEXT) | instid1(VALU_DEP_2)
	v_add_f64_e32 v[8:9], v[40:41], v[8:9]
	v_add_f64_e32 v[6:7], v[38:39], v[6:7]
	v_mul_f64_e32 v[38:39], s[42:43], v[4:5]
	s_delay_alu instid0(VALU_DEP_1) | instskip(SKIP_1) | instid1(VALU_DEP_2)
	v_fma_f64 v[40:41], v[36:37], s[40:41], v[38:39]
	v_fma_f64 v[38:39], v[36:37], s[44:45], v[38:39]
	v_add_f64_e32 v[12:13], v[40:41], v[12:13]
	s_delay_alu instid0(VALU_DEP_2) | instskip(SKIP_1) | instid1(VALU_DEP_1)
	v_add_f64_e32 v[10:11], v[38:39], v[10:11]
	v_mul_f64_e32 v[38:39], s[10:11], v[4:5]
	v_fma_f64 v[40:41], v[36:37], s[4:5], v[38:39]
	v_fma_f64 v[38:39], v[36:37], s[46:47], v[38:39]
	s_delay_alu instid0(VALU_DEP_2) | instskip(NEXT) | instid1(VALU_DEP_2)
	v_add_f64_e32 v[16:17], v[40:41], v[16:17]
	v_add_f64_e32 v[14:15], v[38:39], v[14:15]
	v_mul_f64_e32 v[38:39], s[20:21], v[4:5]
	s_delay_alu instid0(VALU_DEP_1) | instskip(SKIP_1) | instid1(VALU_DEP_2)
	v_fma_f64 v[40:41], v[36:37], s[48:49], v[38:39]
	v_fma_f64 v[38:39], v[36:37], s[18:19], v[38:39]
	v_add_f64_e32 v[20:21], v[40:41], v[20:21]
	s_delay_alu instid0(VALU_DEP_2) | instskip(SKIP_1) | instid1(VALU_DEP_1)
	v_add_f64_e32 v[18:19], v[38:39], v[18:19]
	v_mul_f64_e32 v[38:39], s[30:31], v[4:5]
	v_fma_f64 v[40:41], v[36:37], s[28:29], v[38:39]
	v_fma_f64 v[38:39], v[36:37], s[26:27], v[38:39]
	s_delay_alu instid0(VALU_DEP_2) | instskip(NEXT) | instid1(VALU_DEP_2)
	v_add_f64_e32 v[24:25], v[40:41], v[24:25]
	v_add_f64_e32 v[22:23], v[38:39], v[22:23]
	v_mul_f64_e32 v[38:39], s[14:15], v[4:5]
	s_delay_alu instid0(VALU_DEP_1) | instskip(SKIP_1) | instid1(VALU_DEP_2)
	v_fma_f64 v[40:41], v[36:37], s[12:13], v[38:39]
	v_fma_f64 v[38:39], v[36:37], s[56:57], v[38:39]
	v_add_f64_e32 v[28:29], v[40:41], v[28:29]
	s_delay_alu instid0(VALU_DEP_2) | instskip(SKIP_2) | instid1(VALU_DEP_2)
	v_add_f64_e32 v[26:27], v[38:39], v[26:27]
	v_mul_f64_e32 v[38:39], s[52:53], v[4:5]
	v_mul_f64_e32 v[4:5], s[24:25], v[4:5]
	v_fma_f64 v[40:41], v[36:37], s[54:55], v[38:39]
	v_fma_f64 v[38:39], v[36:37], s[50:51], v[38:39]
	s_delay_alu instid0(VALU_DEP_2) | instskip(NEXT) | instid1(VALU_DEP_2)
	v_add_f64_e32 v[32:33], v[40:41], v[32:33]
	v_add_f64_e32 v[30:31], v[38:39], v[30:31]
	v_fma_f64 v[38:39], v[36:37], s[58:59], v[4:5]
	v_fma_f64 v[4:5], v[36:37], s[22:23], v[4:5]
	s_delay_alu instid0(VALU_DEP_2)
	v_add_f64_e32 v[34:35], v[38:39], v[34:35]
	s_clause 0x1
	scratch_load_b64 v[36:37], off, off offset:384 th:TH_LOAD_LU
	scratch_load_b64 v[38:39], off, off offset:392 th:TH_LOAD_LU
	v_add_f64_e32 v[2:3], v[4:5], v[2:3]
	v_add_f64_e32 v[4:5], v[63:64], v[71:72]
	s_wait_loadcnt 0x0
	v_add_f64_e64 v[36:37], v[36:37], -v[38:39]
	s_delay_alu instid0(VALU_DEP_2) | instskip(NEXT) | instid1(VALU_DEP_1)
	v_mul_f64_e32 v[38:39], s[24:25], v[4:5]
	v_fma_f64 v[40:41], v[36:37], s[58:59], v[38:39]
	v_fma_f64 v[38:39], v[36:37], s[22:23], v[38:39]
	s_delay_alu instid0(VALU_DEP_2) | instskip(NEXT) | instid1(VALU_DEP_2)
	v_add_f64_e32 v[8:9], v[40:41], v[8:9]
	v_add_f64_e32 v[6:7], v[38:39], v[6:7]
	v_mul_f64_e32 v[38:39], s[38:39], v[4:5]
	s_delay_alu instid0(VALU_DEP_1) | instskip(SKIP_1) | instid1(VALU_DEP_2)
	v_fma_f64 v[40:41], v[36:37], s[34:35], v[38:39]
	v_fma_f64 v[38:39], v[36:37], s[36:37], v[38:39]
	v_add_f64_e32 v[12:13], v[40:41], v[12:13]
	s_delay_alu instid0(VALU_DEP_2) | instskip(SKIP_1) | instid1(VALU_DEP_1)
	v_add_f64_e32 v[10:11], v[38:39], v[10:11]
	v_mul_f64_e32 v[38:39], s[52:53], v[4:5]
	v_fma_f64 v[40:41], v[36:37], s[54:55], v[38:39]
	v_fma_f64 v[38:39], v[36:37], s[50:51], v[38:39]
	s_delay_alu instid0(VALU_DEP_2) | instskip(NEXT) | instid1(VALU_DEP_2)
	v_add_f64_e32 v[16:17], v[40:41], v[16:17]
	v_add_f64_e32 v[14:15], v[38:39], v[14:15]
	v_mul_f64_e32 v[38:39], s[42:43], v[4:5]
	s_delay_alu instid0(VALU_DEP_1) | instskip(SKIP_1) | instid1(VALU_DEP_2)
	v_fma_f64 v[40:41], v[36:37], s[44:45], v[38:39]
	v_fma_f64 v[38:39], v[36:37], s[40:41], v[38:39]
	v_add_f64_e32 v[20:21], v[40:41], v[20:21]
	s_delay_alu instid0(VALU_DEP_2) | instskip(SKIP_1) | instid1(VALU_DEP_1)
	v_add_f64_e32 v[18:19], v[38:39], v[18:19]
	v_mul_f64_e32 v[38:39], s[14:15], v[4:5]
	v_fma_f64 v[40:41], v[36:37], s[12:13], v[38:39]
	v_fma_f64 v[38:39], v[36:37], s[56:57], v[38:39]
	s_delay_alu instid0(VALU_DEP_2) | instskip(NEXT) | instid1(VALU_DEP_2)
	v_add_f64_e32 v[24:25], v[40:41], v[24:25]
	v_add_f64_e32 v[22:23], v[38:39], v[22:23]
	v_mul_f64_e32 v[38:39], s[10:11], v[4:5]
	s_delay_alu instid0(VALU_DEP_1) | instskip(SKIP_1) | instid1(VALU_DEP_2)
	v_fma_f64 v[40:41], v[36:37], s[46:47], v[38:39]
	v_fma_f64 v[38:39], v[36:37], s[4:5], v[38:39]
	v_add_f64_e32 v[28:29], v[40:41], v[28:29]
	s_delay_alu instid0(VALU_DEP_2) | instskip(SKIP_2) | instid1(VALU_DEP_2)
	v_add_f64_e32 v[26:27], v[38:39], v[26:27]
	v_mul_f64_e32 v[38:39], s[30:31], v[4:5]
	v_mul_f64_e32 v[4:5], s[20:21], v[4:5]
	v_fma_f64 v[40:41], v[36:37], s[28:29], v[38:39]
	v_fma_f64 v[38:39], v[36:37], s[26:27], v[38:39]
	s_delay_alu instid0(VALU_DEP_2) | instskip(NEXT) | instid1(VALU_DEP_2)
	v_add_f64_e32 v[32:33], v[40:41], v[32:33]
	v_add_f64_e32 v[30:31], v[38:39], v[30:31]
	v_fma_f64 v[38:39], v[36:37], s[18:19], v[4:5]
	v_fma_f64 v[4:5], v[36:37], s[48:49], v[4:5]
	scratch_load_b64 v[36:37], off, off offset:312 th:TH_LOAD_LU ; 8-byte Folded Reload
	v_add_f64_e32 v[34:35], v[38:39], v[34:35]
	v_add_f64_e32 v[2:3], v[4:5], v[2:3]
	;; [unrolled: 1-line block ×3, first 2 shown]
	s_delay_alu instid0(VALU_DEP_1) | instskip(SKIP_2) | instid1(VALU_DEP_1)
	v_mul_f64_e32 v[38:39], s[42:43], v[4:5]
	s_wait_loadcnt 0x0
	v_add_f64_e64 v[36:37], v[36:37], -v[228:229]
	v_fma_f64 v[40:41], v[36:37], s[44:45], v[38:39]
	v_fma_f64 v[38:39], v[36:37], s[40:41], v[38:39]
	s_delay_alu instid0(VALU_DEP_2) | instskip(NEXT) | instid1(VALU_DEP_2)
	v_add_f64_e32 v[8:9], v[40:41], v[8:9]
	v_add_f64_e32 v[6:7], v[38:39], v[6:7]
	v_mul_f64_e32 v[38:39], s[20:21], v[4:5]
	s_delay_alu instid0(VALU_DEP_1) | instskip(SKIP_1) | instid1(VALU_DEP_2)
	v_fma_f64 v[40:41], v[36:37], s[18:19], v[38:39]
	v_fma_f64 v[38:39], v[36:37], s[48:49], v[38:39]
	v_add_f64_e32 v[12:13], v[40:41], v[12:13]
	s_delay_alu instid0(VALU_DEP_2) | instskip(SKIP_1) | instid1(VALU_DEP_1)
	v_add_f64_e32 v[10:11], v[38:39], v[10:11]
	v_mul_f64_e32 v[38:39], s[14:15], v[4:5]
	v_fma_f64 v[40:41], v[36:37], s[56:57], v[38:39]
	v_fma_f64 v[38:39], v[36:37], s[12:13], v[38:39]
	s_delay_alu instid0(VALU_DEP_2) | instskip(NEXT) | instid1(VALU_DEP_2)
	v_add_f64_e32 v[16:17], v[40:41], v[16:17]
	v_add_f64_e32 v[14:15], v[38:39], v[14:15]
	v_mul_f64_e32 v[38:39], s[24:25], v[4:5]
	s_delay_alu instid0(VALU_DEP_1) | instskip(SKIP_1) | instid1(VALU_DEP_2)
	v_fma_f64 v[40:41], v[36:37], s[22:23], v[38:39]
	v_fma_f64 v[38:39], v[36:37], s[58:59], v[38:39]
	v_add_f64_e32 v[20:21], v[40:41], v[20:21]
	s_delay_alu instid0(VALU_DEP_2) | instskip(SKIP_1) | instid1(VALU_DEP_1)
	v_add_f64_e32 v[18:19], v[38:39], v[18:19]
	v_mul_f64_e32 v[38:39], s[52:53], v[4:5]
	v_fma_f64 v[40:41], v[36:37], s[54:55], v[38:39]
	v_fma_f64 v[38:39], v[36:37], s[50:51], v[38:39]
	s_delay_alu instid0(VALU_DEP_2) | instskip(NEXT) | instid1(VALU_DEP_2)
	v_add_f64_e32 v[24:25], v[40:41], v[24:25]
	v_add_f64_e32 v[22:23], v[38:39], v[22:23]
	v_mul_f64_e32 v[38:39], s[30:31], v[4:5]
	s_delay_alu instid0(VALU_DEP_1) | instskip(SKIP_1) | instid1(VALU_DEP_2)
	v_fma_f64 v[40:41], v[36:37], s[28:29], v[38:39]
	v_fma_f64 v[38:39], v[36:37], s[26:27], v[38:39]
	v_add_f64_e32 v[28:29], v[40:41], v[28:29]
	s_delay_alu instid0(VALU_DEP_2) | instskip(SKIP_2) | instid1(VALU_DEP_2)
	v_add_f64_e32 v[26:27], v[38:39], v[26:27]
	v_mul_f64_e32 v[38:39], s[10:11], v[4:5]
	v_mul_f64_e32 v[4:5], s[38:39], v[4:5]
	v_fma_f64 v[40:41], v[36:37], s[4:5], v[38:39]
	v_fma_f64 v[38:39], v[36:37], s[46:47], v[38:39]
	s_delay_alu instid0(VALU_DEP_2) | instskip(NEXT) | instid1(VALU_DEP_2)
	v_add_f64_e32 v[32:33], v[40:41], v[32:33]
	v_add_f64_e32 v[30:31], v[38:39], v[30:31]
	v_fma_f64 v[38:39], v[36:37], s[36:37], v[4:5]
	v_fma_f64 v[4:5], v[36:37], s[34:35], v[4:5]
	scratch_load_b64 v[36:37], off, off offset:296 th:TH_LOAD_LU ; 8-byte Folded Reload
	global_wb scope:SCOPE_SE
	s_wait_storecnt 0x0
	s_wait_loadcnt_dscnt 0x0
	s_barrier_signal -1
	s_barrier_wait -1
	global_inv scope:SCOPE_SE
	v_add_f64_e32 v[34:35], v[38:39], v[34:35]
	v_add_f64_e32 v[2:3], v[4:5], v[2:3]
	;; [unrolled: 1-line block ×3, first 2 shown]
	s_delay_alu instid0(VALU_DEP_1) | instskip(SKIP_1) | instid1(VALU_DEP_1)
	v_mul_f64_e32 v[38:39], s[30:31], v[4:5]
	v_add_f64_e64 v[36:37], v[36:37], -v[148:149]
	v_fma_f64 v[40:41], v[36:37], s[28:29], v[38:39]
	s_delay_alu instid0(VALU_DEP_1) | instskip(SKIP_1) | instid1(VALU_DEP_1)
	v_add_f64_e32 v[166:167], v[40:41], v[8:9]
	v_fma_f64 v[8:9], v[36:37], s[26:27], v[38:39]
	v_add_f64_e32 v[136:137], v[8:9], v[6:7]
	v_mul_f64_e32 v[6:7], s[52:53], v[4:5]
	s_delay_alu instid0(VALU_DEP_1) | instskip(SKIP_1) | instid1(VALU_DEP_2)
	v_fma_f64 v[8:9], v[36:37], s[50:51], v[6:7]
	v_fma_f64 v[6:7], v[36:37], s[54:55], v[6:7]
	v_add_f64_e32 v[162:163], v[8:9], v[12:13]
	s_delay_alu instid0(VALU_DEP_2) | instskip(SKIP_1) | instid1(VALU_DEP_1)
	v_add_f64_e32 v[138:139], v[6:7], v[10:11]
	v_mul_f64_e32 v[6:7], s[42:43], v[4:5]
	v_fma_f64 v[8:9], v[36:37], s[44:45], v[6:7]
	v_fma_f64 v[6:7], v[36:37], s[40:41], v[6:7]
	s_delay_alu instid0(VALU_DEP_2) | instskip(NEXT) | instid1(VALU_DEP_2)
	v_add_f64_e32 v[164:165], v[8:9], v[16:17]
	v_add_f64_e32 v[140:141], v[6:7], v[14:15]
	v_mul_f64_e32 v[6:7], s[10:11], v[4:5]
	s_delay_alu instid0(VALU_DEP_1) | instskip(SKIP_1) | instid1(VALU_DEP_2)
	v_fma_f64 v[8:9], v[36:37], s[4:5], v[6:7]
	v_fma_f64 v[6:7], v[36:37], s[46:47], v[6:7]
	v_add_f64_e32 v[158:159], v[8:9], v[20:21]
	s_delay_alu instid0(VALU_DEP_2) | instskip(SKIP_1) | instid1(VALU_DEP_1)
	v_add_f64_e32 v[142:143], v[6:7], v[18:19]
	v_mul_f64_e32 v[6:7], s[24:25], v[4:5]
	v_fma_f64 v[8:9], v[36:37], s[58:59], v[6:7]
	v_fma_f64 v[6:7], v[36:37], s[22:23], v[6:7]
	s_delay_alu instid0(VALU_DEP_2) | instskip(NEXT) | instid1(VALU_DEP_2)
	v_add_f64_e32 v[160:161], v[8:9], v[24:25]
	v_add_f64_e32 v[144:145], v[6:7], v[22:23]
	v_mul_f64_e32 v[6:7], s[20:21], v[4:5]
	s_delay_alu instid0(VALU_DEP_1) | instskip(SKIP_1) | instid1(VALU_DEP_2)
	v_fma_f64 v[8:9], v[36:37], s[18:19], v[6:7]
	v_fma_f64 v[6:7], v[36:37], s[48:49], v[6:7]
	v_add_f64_e32 v[154:155], v[8:9], v[28:29]
	s_delay_alu instid0(VALU_DEP_2) | instskip(SKIP_2) | instid1(VALU_DEP_2)
	v_add_f64_e32 v[146:147], v[6:7], v[26:27]
	v_mul_f64_e32 v[6:7], s[38:39], v[4:5]
	v_mul_f64_e32 v[4:5], s[14:15], v[4:5]
	v_fma_f64 v[8:9], v[36:37], s[36:37], v[6:7]
	v_fma_f64 v[6:7], v[36:37], s[34:35], v[6:7]
	s_delay_alu instid0(VALU_DEP_2) | instskip(NEXT) | instid1(VALU_DEP_2)
	v_add_f64_e32 v[156:157], v[8:9], v[32:33]
	v_add_f64_e32 v[148:149], v[6:7], v[30:31]
	v_fma_f64 v[6:7], v[36:37], s[12:13], v[4:5]
	v_fma_f64 v[4:5], v[36:37], s[56:57], v[4:5]
	s_delay_alu instid0(VALU_DEP_2) | instskip(NEXT) | instid1(VALU_DEP_2)
	v_add_f64_e32 v[150:151], v[6:7], v[34:35]
	v_add_f64_e32 v[152:153], v[4:5], v[2:3]
	scratch_load_b32 v2, off, off offset:12 ; 4-byte Folded Reload
	s_wait_loadcnt 0x0
	ds_load_b64 v[128:129], v2
	ds_load_2addr_b64 v[6:9], v239 offset0:119 offset1:136
	ds_load_2addr_b64 v[42:45], v239 offset0:221 offset1:238
	;; [unrolled: 1-line block ×4, first 2 shown]
	scratch_load_b32 v2, off, off offset:16 ; 4-byte Folded Reload
	s_wait_loadcnt 0x0
	ds_load_b64 v[253:254], v2
	v_add_nc_u32_e32 v2, 0x400, v239
	ds_load_2addr_b64 v[18:21], v2 offset0:127 offset1:144
	ds_load_2addr_b64 v[14:17], v54 offset0:237 offset1:254
	v_lshlrev_b32_e32 v2, 3, v238
	s_delay_alu instid0(VALU_DEP_1)
	v_add3_u32 v64, 0, v2, v127
	ds_load_b64 v[130:131], v64
	ds_load_2addr_b64 v[22:25], v239 offset0:153 offset1:170
	ds_load_2addr_b64 v[26:29], v54 offset0:135 offset1:152
	scratch_load_b32 v2, off, off           ; 4-byte Folded Reload
	s_wait_loadcnt 0x0
	v_lshlrev_b32_e32 v2, 3, v2
	s_delay_alu instid0(VALU_DEP_1)
	v_add3_u32 v65, 0, v2, v127
	ds_load_b64 v[132:133], v65
	ds_load_2addr_b64 v[34:37], v54 offset0:33 offset1:50
	scratch_load_b32 v2, off, off offset:8  ; 4-byte Folded Reload
	ds_load_2addr_b64 v[30:33], v55 offset0:15 offset1:32
	s_wait_loadcnt 0x0
	v_lshlrev_b32_e32 v2, 3, v2
	s_delay_alu instid0(VALU_DEP_1)
	v_add3_u32 v66, 0, v2, v127
	ds_load_b64 v[134:135], v66
	ds_load_2addr_b64 v[46:49], v239 offset0:187 offset1:204
	ds_load_2addr_b64 v[50:53], v54 offset0:169 offset1:186
	;; [unrolled: 1-line block ×5, first 2 shown]
	global_wb scope:SCOPE_SE
	s_wait_dscnt 0x0
	s_barrier_signal -1
	s_barrier_wait -1
	global_inv scope:SCOPE_SE
	ds_store_2addr_b64 v96, v[236:237], v[192:193] offset1:7
	ds_store_2addr_b64 v96, v[198:199], v[200:201] offset0:14 offset1:21
	ds_store_2addr_b64 v96, v[194:195], v[196:197] offset0:28 offset1:35
	;; [unrolled: 1-line block ×7, first 2 shown]
	ds_store_b64 v96, v[168:169] offset:896
	ds_store_2addr_b64 v80, v[170:171], v[166:167] offset1:7
	ds_store_2addr_b64 v80, v[162:163], v[164:165] offset0:14 offset1:21
	ds_store_2addr_b64 v80, v[158:159], v[160:161] offset0:28 offset1:35
	;; [unrolled: 1-line block ×7, first 2 shown]
	ds_store_b64 v80, v[136:137] offset:896
	s_and_saveexec_b32 s33, s0
	s_cbranch_execz .LBB0_20
; %bb.19:
	s_clause 0x3
	scratch_load_b64 v[67:68], off, off offset:264 th:TH_LOAD_LU
	scratch_load_b64 v[69:70], off, off offset:272 th:TH_LOAD_LU
	;; [unrolled: 1-line block ×4, first 2 shown]
	s_mov_b32 s4, 0x370991
	s_mov_b32 s14, 0x75d4884
	;; [unrolled: 1-line block ×40, first 2 shown]
	s_wait_alu 0xfffe
	s_mov_b32 s10, s0
	s_mov_b32 s18, s12
	;; [unrolled: 1-line block ×8, first 2 shown]
	v_add3_u32 v62, 0, v62, v127
	s_delay_alu instid0(VALU_DEP_1) | instskip(SKIP_4) | instid1(VALU_DEP_1)
	v_add_nc_u32_e32 v63, 0x800, v62
	s_wait_loadcnt 0x2
	v_add_f64_e64 v[67:68], v[69:70], -v[67:68]
	s_wait_loadcnt 0x0
	v_add_f64_e32 v[69:70], v[101:102], v[125:126]
	v_mul_f64_e32 v[71:72], s[14:15], v[69:70]
	v_mul_f64_e32 v[73:74], s[26:27], v[69:70]
	v_mul_f64_e32 v[75:76], s[30:31], v[69:70]
	v_mul_f64_e32 v[77:78], s[36:37], v[69:70]
	v_mul_f64_e32 v[79:80], s[34:35], v[69:70]
	v_mul_f64_e32 v[81:82], s[28:29], v[69:70]
	v_mul_f64_e32 v[83:84], s[22:23], v[69:70]
	v_mul_f64_e32 v[69:70], s[4:5], v[69:70]
	v_fma_f64 v[85:86], v[67:68], s[12:13], v[71:72]
	s_wait_alu 0xfffe
	v_fma_f64 v[71:72], v[67:68], s[18:19], v[71:72]
	v_fma_f64 v[87:88], v[67:68], s[38:39], v[73:74]
	;; [unrolled: 1-line block ×15, first 2 shown]
	v_add_f64_e32 v[69:70], v[0:1], v[101:102]
	v_add_f64_e32 v[85:86], v[0:1], v[85:86]
	;; [unrolled: 1-line block ×17, first 2 shown]
	s_clause 0x1
	scratch_load_b64 v[67:68], off, off offset:144 th:TH_LOAD_LU
	scratch_load_b64 v[101:102], off, off offset:248 th:TH_LOAD_LU
	s_wait_loadcnt 0x0
	v_add_f64_e64 v[67:68], v[67:68], -v[101:102]
	s_clause 0x1
	scratch_load_b64 v[101:102], off, off offset:152 th:TH_LOAD_LU
	scratch_load_b64 v[103:104], off, off offset:240 th:TH_LOAD_LU
	s_wait_loadcnt 0x0
	v_add_f64_e64 v[101:102], v[101:102], -v[103:104]
	;; [unrolled: 5-line block ×6, first 2 shown]
	s_clause 0x9
	scratch_load_b64 v[111:112], off, off offset:192 th:TH_LOAD_LU
	scratch_load_b64 v[113:114], off, off offset:200 th:TH_LOAD_LU
	;; [unrolled: 1-line block ×10, first 2 shown]
	s_wait_loadcnt 0x8
	v_add_f64_e64 v[111:112], v[111:112], -v[113:114]
	scratch_load_b64 v[113:114], off, off offset:128 th:TH_LOAD_LU ; 8-byte Folded Reload
	s_wait_loadcnt 0x0
	v_add_f64_e32 v[69:70], v[69:70], v[113:114]
	v_add_f64_e32 v[113:114], v[113:114], v[188:189]
	s_delay_alu instid0(VALU_DEP_1)
	v_mul_f64_e32 v[115:116], s[14:15], v[113:114]
	v_mul_f64_e32 v[117:118], s[26:27], v[113:114]
	;; [unrolled: 1-line block ×8, first 2 shown]
	v_fma_f64 v[140:141], v[67:68], s[12:13], v[115:116]
	v_fma_f64 v[115:116], v[67:68], s[18:19], v[115:116]
	;; [unrolled: 1-line block ×16, first 2 shown]
	scratch_load_b64 v[113:114], off, off offset:120 th:TH_LOAD_LU ; 8-byte Folded Reload
	v_add_f64_e32 v[99:100], v[140:141], v[99:100]
	v_add_f64_e32 v[0:1], v[115:116], v[0:1]
	scratch_load_b64 v[115:116], off, off offset:104 th:TH_LOAD_LU ; 8-byte Folded Reload
	v_add_f64_e32 v[69:70], v[69:70], v[156:157]
	v_add_f64_e32 v[156:157], v[156:157], v[190:191]
	v_add_f64_e32 v[71:72], v[117:118], v[71:72]
	v_add_f64_e32 v[85:86], v[142:143], v[85:86]
	v_add_f64_e32 v[73:74], v[121:122], v[73:74]
	v_add_f64_e32 v[97:98], v[144:145], v[97:98]
	v_add_f64_e32 v[87:88], v[146:147], v[87:88]
	v_add_f64_e32 v[95:96], v[148:149], v[95:96]
	v_add_f64_e32 v[75:76], v[136:137], v[75:76]
	v_add_f64_e32 v[89:90], v[150:151], v[89:90]
	v_add_f64_e32 v[93:94], v[152:153], v[93:94]
	v_add_f64_e32 v[91:92], v[154:155], v[91:92]
	v_add_f64_e32 v[67:68], v[67:68], v[77:78]
	v_add_f64_e32 v[77:78], v[138:139], v[79:80]
	v_add_f64_e32 v[79:80], v[123:124], v[81:82]
	v_add_f64_e32 v[81:82], v[119:120], v[83:84]
	v_add_f64_e32 v[69:70], v[69:70], v[198:199]
	v_mul_f64_e32 v[160:161], s[30:31], v[156:157]
	v_mul_f64_e32 v[162:163], s[36:37], v[156:157]
	;; [unrolled: 1-line block ×6, first 2 shown]
	v_add_f64_e32 v[69:70], v[69:70], v[196:197]
	v_fma_f64 v[174:175], v[101:102], s[46:47], v[160:161]
	v_fma_f64 v[160:161], v[101:102], s[48:49], v[160:161]
	v_fma_f64 v[176:177], v[101:102], s[56:57], v[162:163]
	v_fma_f64 v[162:163], v[101:102], s[54:55], v[162:163]
	v_fma_f64 v[178:179], v[101:102], s[44:45], v[164:165]
	v_fma_f64 v[164:165], v[101:102], s[42:43], v[164:165]
	v_fma_f64 v[180:181], v[101:102], s[18:19], v[166:167]
	v_fma_f64 v[166:167], v[101:102], s[12:13], v[166:167]
	v_fma_f64 v[182:183], v[101:102], s[0:1], v[168:169]
	v_fma_f64 v[168:169], v[101:102], s[10:11], v[168:169]
	v_fma_f64 v[184:185], v[101:102], s[38:39], v[170:171]
	v_fma_f64 v[170:171], v[101:102], s[40:41], v[170:171]
	v_add_f64_e32 v[69:70], v[69:70], v[194:195]
	v_add_f64_e32 v[85:86], v[174:175], v[85:86]
	;; [unrolled: 1-line block ×14, first 2 shown]
	s_wait_loadcnt 0x0
	v_add_f64_e32 v[83:84], v[192:193], v[115:116]
	scratch_load_b64 v[192:193], off, off offset:48 th:TH_LOAD_LU ; 8-byte Folded Reload
	v_add_f64_e32 v[69:70], v[69:70], v[113:114]
	v_add_f64_e32 v[113:114], v[113:114], v[158:159]
	s_delay_alu instid0(VALU_DEP_2) | instskip(SKIP_2) | instid1(VALU_DEP_3)
	v_add_f64_e32 v[69:70], v[69:70], v[158:159]
	v_mul_f64_e32 v[158:159], s[22:23], v[156:157]
	v_mul_f64_e32 v[156:157], s[34:35], v[156:157]
	v_add_f64_e32 v[69:70], v[69:70], v[115:116]
	s_delay_alu instid0(VALU_DEP_3) | instskip(SKIP_1) | instid1(VALU_DEP_4)
	v_fma_f64 v[172:173], v[101:102], s[20:21], v[158:159]
	v_fma_f64 v[158:159], v[101:102], s[24:25], v[158:159]
	v_fma_f64 v[186:187], v[101:102], s[50:51], v[156:157]
	v_fma_f64 v[101:102], v[101:102], s[52:53], v[156:157]
	s_delay_alu instid0(VALU_DEP_4) | instskip(NEXT) | instid1(VALU_DEP_4)
	v_add_f64_e32 v[99:100], v[172:173], v[99:100]
	v_add_f64_e32 v[0:1], v[158:159], v[0:1]
	s_delay_alu instid0(VALU_DEP_4) | instskip(NEXT) | instid1(VALU_DEP_4)
	v_add_f64_e32 v[91:92], v[186:187], v[91:92]
	v_add_f64_e32 v[67:68], v[101:102], v[67:68]
	s_wait_loadcnt 0x0
	v_add_f64_e32 v[115:116], v[198:199], v[192:193]
	s_delay_alu instid0(VALU_DEP_1)
	v_mul_f64_e32 v[117:118], s[26:27], v[115:116]
	v_mul_f64_e32 v[119:120], s[36:37], v[115:116]
	;; [unrolled: 1-line block ×8, first 2 shown]
	v_fma_f64 v[142:143], v[103:104], s[38:39], v[117:118]
	v_fma_f64 v[117:118], v[103:104], s[40:41], v[117:118]
	;; [unrolled: 1-line block ×16, first 2 shown]
	scratch_load_b64 v[115:116], off, off offset:80 th:TH_LOAD_LU ; 8-byte Folded Reload
	v_add_f64_e32 v[99:100], v[142:143], v[99:100]
	v_add_f64_e32 v[0:1], v[117:118], v[0:1]
	;; [unrolled: 1-line block ×16, first 2 shown]
	v_mul_f64_e32 v[154:155], s[26:27], v[83:84]
	v_mul_f64_e32 v[156:157], s[30:31], v[83:84]
	s_wait_loadcnt 0x0
	v_add_f64_e32 v[101:102], v[194:195], v[115:116]
	scratch_load_b64 v[194:195], off, off offset:56 th:TH_LOAD_LU ; 8-byte Folded Reload
	v_add_f64_e32 v[69:70], v[69:70], v[115:116]
	v_mul_f64_e32 v[103:104], s[30:31], v[101:102]
	v_mul_f64_e32 v[117:118], s[4:5], v[101:102]
	;; [unrolled: 1-line block ×6, first 2 shown]
	v_fma_f64 v[138:139], v[107:108], s[46:47], v[103:104]
	v_fma_f64 v[103:104], v[107:108], s[48:49], v[103:104]
	;; [unrolled: 1-line block ×12, first 2 shown]
	s_wait_loadcnt 0x0
	v_add_f64_e32 v[115:116], v[196:197], v[194:195]
	v_add_f64_e32 v[69:70], v[69:70], v[194:195]
	s_delay_alu instid0(VALU_DEP_2)
	v_mul_f64_e32 v[158:159], s[28:29], v[115:116]
	v_mul_f64_e32 v[160:161], s[34:35], v[115:116]
	;; [unrolled: 1-line block ×8, first 2 shown]
	v_add_f64_e32 v[69:70], v[69:70], v[192:193]
	v_fma_f64 v[172:173], v[105:106], s[42:43], v[158:159]
	v_fma_f64 v[158:159], v[105:106], s[44:45], v[158:159]
	;; [unrolled: 1-line block ×16, first 2 shown]
	v_mul_f64_e32 v[115:116], s[28:29], v[101:102]
	v_mul_f64_e32 v[101:102], s[22:23], v[101:102]
	v_add_f64_e32 v[69:70], v[69:70], v[190:191]
	v_add_f64_e32 v[99:100], v[172:173], v[99:100]
	;; [unrolled: 1-line block ×7, first 2 shown]
	v_mul_f64_e32 v[158:159], s[4:5], v[83:84]
	v_mul_f64_e32 v[160:161], s[36:37], v[83:84]
	;; [unrolled: 1-line block ×3, first 2 shown]
	v_add_f64_e32 v[87:88], v[178:179], v[87:88]
	v_add_f64_e32 v[95:96], v[180:181], v[95:96]
	;; [unrolled: 1-line block ×7, first 2 shown]
	v_fma_f64 v[140:141], v[107:108], s[44:45], v[115:116]
	v_fma_f64 v[115:116], v[107:108], s[42:43], v[115:116]
	;; [unrolled: 1-line block ×4, first 2 shown]
	v_mul_f64_e32 v[105:106], s[34:35], v[83:84]
	v_mul_f64_e32 v[107:108], s[22:23], v[83:84]
	;; [unrolled: 1-line block ×3, first 2 shown]
	v_add_f64_e32 v[91:92], v[186:187], v[91:92]
	v_add_f64_e32 v[75:76], v[168:169], v[75:76]
	;; [unrolled: 1-line block ×3, first 2 shown]
	v_fma_f64 v[168:169], v[109:110], s[38:39], v[154:155]
	v_fma_f64 v[154:155], v[109:110], s[40:41], v[154:155]
	;; [unrolled: 1-line block ×4, first 2 shown]
	v_add_f64_e32 v[69:70], v[69:70], v[188:189]
	v_add_f64_e32 v[99:100], v[138:139], v[99:100]
	v_add_f64_e32 v[0:1], v[103:104], v[0:1]
	v_mul_f64_e32 v[103:104], s[4:5], v[113:114]
	v_add_f64_e32 v[97:98], v[142:143], v[97:98]
	v_add_f64_e32 v[81:82], v[117:118], v[81:82]
	v_fma_f64 v[172:173], v[109:110], s[0:1], v[158:159]
	v_fma_f64 v[158:159], v[109:110], s[10:11], v[158:159]
	;; [unrolled: 1-line block ×6, first 2 shown]
	v_add_f64_e32 v[87:88], v[144:145], v[87:88]
	v_add_f64_e32 v[95:96], v[146:147], v[95:96]
	v_mul_f64_e32 v[117:118], s[30:31], v[113:114]
	v_add_f64_e32 v[73:74], v[119:120], v[73:74]
	v_add_f64_e32 v[85:86], v[140:141], v[85:86]
	;; [unrolled: 1-line block ×3, first 2 shown]
	v_mul_f64_e32 v[115:116], s[14:15], v[113:114]
	v_add_f64_e32 v[89:90], v[148:149], v[89:90]
	v_fma_f64 v[164:165], v[109:110], s[50:51], v[105:106]
	v_fma_f64 v[105:106], v[109:110], s[52:53], v[105:106]
	;; [unrolled: 1-line block ×6, first 2 shown]
	v_mul_f64_e32 v[109:110], s[34:35], v[113:114]
	v_add_f64_e32 v[93:94], v[150:151], v[93:94]
	v_add_f64_e32 v[79:80], v[121:122], v[79:80]
	v_mul_f64_e32 v[119:120], s[22:23], v[113:114]
	v_mul_f64_e32 v[121:122], s[28:29], v[113:114]
	v_add_f64_e32 v[91:92], v[152:153], v[91:92]
	v_add_f64_e32 v[67:68], v[101:102], v[67:68]
	v_mul_f64_e32 v[101:102], s[36:37], v[113:114]
	v_mul_f64_e32 v[113:114], s[26:27], v[113:114]
	v_add_f64_e32 v[75:76], v[123:124], v[75:76]
	v_add_f64_e32 v[77:78], v[136:137], v[77:78]
	;; [unrolled: 1-line block ×3, first 2 shown]
	v_fma_f64 v[136:137], v[111:112], s[10:11], v[103:104]
	v_fma_f64 v[103:104], v[111:112], s[0:1], v[103:104]
	v_add_f64_e32 v[97:98], v[168:169], v[97:98]
	v_add_f64_e32 v[81:82], v[154:155], v[81:82]
	;; [unrolled: 1-line block ×4, first 2 shown]
	v_fma_f64 v[142:143], v[111:112], s[46:47], v[117:118]
	v_fma_f64 v[117:118], v[111:112], s[48:49], v[117:118]
	v_add_f64_e32 v[73:74], v[156:157], v[73:74]
	v_fma_f64 v[140:141], v[111:112], s[18:19], v[115:116]
	v_add_f64_e32 v[89:90], v[174:175], v[89:90]
	v_fma_f64 v[115:116], v[111:112], s[12:13], v[115:116]
	v_add_f64_e32 v[99:100], v[164:165], v[99:100]
	v_add_f64_e32 v[85:86], v[166:167], v[85:86]
	v_add_f64_e32 v[71:72], v[107:108], v[71:72]
	;; [unrolled: 1-line block ×3, first 2 shown]
	v_fma_f64 v[138:139], v[111:112], s[50:51], v[109:110]
	v_add_f64_e32 v[93:94], v[176:177], v[93:94]
	v_fma_f64 v[109:110], v[111:112], s[52:53], v[109:110]
	v_fma_f64 v[144:145], v[111:112], s[24:25], v[119:120]
	;; [unrolled: 1-line block ×9, first 2 shown]
	v_add_f64_e32 v[91:92], v[178:179], v[91:92]
	v_add_f64_e32 v[67:68], v[83:84], v[67:68]
	;; [unrolled: 1-line block ×16, first 2 shown]
	v_add_nc_u32_e32 v99, 0x1000, v62
	v_add_f64_e32 v[91:92], v[148:149], v[91:92]
	v_add_f64_e32 v[67:68], v[111:112], v[67:68]
	;; [unrolled: 1-line block ×5, first 2 shown]
	ds_store_2addr_b64 v63, v[85:86], v[97:98] offset0:234 offset1:241
	ds_store_2addr_b64 v63, v[87:88], v[95:96] offset0:248 offset1:255
	;; [unrolled: 1-line block ×8, first 2 shown]
	ds_store_b64 v62, v[0:1] offset:4704
.LBB0_20:
	s_or_b32 exec_lo, exec_lo, s33
	global_wb scope:SCOPE_SE
	s_wait_dscnt 0x0
	s_barrier_signal -1
	s_barrier_wait -1
	global_inv scope:SCOPE_SE
	s_and_saveexec_b32 s0, vcc_lo
	s_cbranch_execz .LBB0_22
; %bb.21:
	v_dual_mov_b32 v1, 0 :: v_dual_lshlrev_b32 v62, 2, v234
	v_add_nc_u32_e32 v126, 0x800, v239
	v_add_nc_u32_e32 v127, 0x1000, v239
	s_mov_b32 s0, 0x134454ff
	s_delay_alu instid0(VALU_DEP_3) | instskip(SKIP_2) | instid1(VALU_DEP_1)
	v_dual_mov_b32 v63, v1 :: v_dual_add_nc_u32 v0, 0x198, v62
	s_mov_b32 s1, 0x3fee6f0e
	s_mov_b32 s5, 0x3fe2cf23
	v_lshlrev_b64_e32 v[67:68], 4, v[0:1]
	v_add_nc_u32_e32 v0, 0x154, v62
	v_lshlrev_b64_e32 v[69:70], 4, v[62:63]
	s_delay_alu instid0(VALU_DEP_2) | instskip(NEXT) | instid1(VALU_DEP_4)
	v_lshlrev_b64_e32 v[62:63], 4, v[0:1]
	v_add_co_u32 v92, vcc_lo, s8, v67
	s_wait_alu 0xfffd
	v_add_co_ci_u32_e32 v93, vcc_lo, s9, v68, vcc_lo
	s_delay_alu instid0(VALU_DEP_4)
	v_add_co_u32 v120, vcc_lo, s8, v69
	s_wait_alu 0xfffd
	v_add_co_ci_u32_e32 v121, vcc_lo, s9, v70, vcc_lo
	v_add_co_u32 v62, vcc_lo, s8, v62
	s_wait_alu 0xfffd
	v_add_co_ci_u32_e32 v63, vcc_lo, s9, v63, vcc_lo
	s_clause 0x5
	global_load_b128 v[67:70], v[92:93], off offset:1792
	global_load_b128 v[71:74], v[120:121], off offset:1808
	;; [unrolled: 1-line block ×6, first 2 shown]
	scratch_load_b32 v0, off, off offset:8 th:TH_LOAD_LU ; 4-byte Folded Reload
	s_clause 0x1
	global_load_b128 v[92:95], v[92:93], off offset:1840
	global_load_b128 v[96:99], v[62:63], off offset:1840
	s_wait_loadcnt 0x6
	v_mul_f64_e32 v[216:217], v[38:39], v[77:78]
	s_wait_loadcnt 0x5
	v_mul_f64_e32 v[218:219], v[40:41], v[81:82]
	s_wait_loadcnt 0x2
	v_lshlrev_b32_e32 v0, 2, v0
	v_mul_f64_e32 v[222:223], v[60:61], v[86:87]
	v_mul_f64_e32 v[224:225], v[58:59], v[90:91]
	s_wait_loadcnt 0x1
	v_mul_f64_e32 v[226:227], v[56:57], v[94:95]
	s_wait_loadcnt 0x0
	v_mul_f64_e32 v[228:229], v[54:55], v[98:99]
	v_lshlrev_b64_e32 v[100:101], 4, v[0:1]
	s_delay_alu instid0(VALU_DEP_1) | instskip(SKIP_1) | instid1(VALU_DEP_2)
	v_add_co_u32 v124, vcc_lo, s8, v100
	s_wait_alu 0xfffd
	v_add_co_ci_u32_e32 v125, vcc_lo, s9, v101, vcc_lo
	s_clause 0x3
	global_load_b128 v[100:103], v[62:63], off offset:1824
	global_load_b128 v[104:107], v[124:125], off offset:1824
	;; [unrolled: 1-line block ×4, first 2 shown]
	scratch_load_b32 v0, off, off th:TH_LOAD_LU ; 4-byte Folded Reload
	s_clause 0x3
	global_load_b128 v[116:119], v[120:121], off offset:1824
	global_load_b128 v[140:143], v[124:125], off offset:1840
	;; [unrolled: 1-line block ×4, first 2 shown]
	v_mul_f64_e32 v[124:125], v[44:45], v[73:74]
	s_wait_loadcnt 0x4
	v_lshlrev_b32_e32 v0, 2, v0
	s_delay_alu instid0(VALU_DEP_1) | instskip(SKIP_2) | instid1(VALU_DEP_3)
	v_lshlrev_b64_e32 v[62:63], 4, v[0:1]
	v_lshlrev_b32_e32 v0, 2, v238
	v_mul_f64_e32 v[237:238], v[50:51], v[106:107]
	v_add_co_u32 v62, vcc_lo, s8, v62
	s_wait_alu 0xfffd
	s_delay_alu instid0(VALU_DEP_4)
	v_add_co_ci_u32_e32 v63, vcc_lo, s9, v63, vcc_lo
	s_clause 0x3
	global_load_b128 v[144:147], v[62:63], off offset:1808
	global_load_b128 v[148:151], v[62:63], off offset:1840
	;; [unrolled: 1-line block ×4, first 2 shown]
	v_lshlrev_b64_e32 v[160:161], 4, v[0:1]
	v_lshlrev_b32_e32 v0, 2, v235
	s_delay_alu instid0(VALU_DEP_1) | instskip(NEXT) | instid1(VALU_DEP_3)
	v_lshlrev_b64_e32 v[0:1], 4, v[0:1]
	v_add_co_u32 v62, vcc_lo, s8, v160
	s_wait_alu 0xfffd
	s_delay_alu instid0(VALU_DEP_4)
	v_add_co_ci_u32_e32 v63, vcc_lo, s9, v161, vcc_lo
	s_clause 0x3
	global_load_b128 v[160:163], v[62:63], off offset:1808
	global_load_b128 v[164:167], v[62:63], off offset:1840
	;; [unrolled: 1-line block ×4, first 2 shown]
	v_add_co_u32 v0, vcc_lo, s8, v0
	s_wait_alu 0xfffd
	v_add_co_ci_u32_e32 v1, vcc_lo, s9, v1, vcc_lo
	s_clause 0x3
	global_load_b128 v[176:179], v[0:1], off offset:1808
	global_load_b128 v[180:183], v[0:1], off offset:1792
	;; [unrolled: 1-line block ×4, first 2 shown]
	ds_load_2addr_b64 v[192:195], v239 offset0:221 offset1:238
	ds_load_2addr_b64 v[196:199], v126 offset0:203 offset1:220
	;; [unrolled: 1-line block ×3, first 2 shown]
	v_mul_f64_e32 v[0:1], v[42:43], v[69:70]
	ds_load_2addr_b64 v[204:207], v127 offset0:49 offset1:66
	ds_load_2addr_b64 v[212:215], v239 offset0:187 offset1:204
	;; [unrolled: 1-line block ×3, first 2 shown]
	s_mov_b32 s9, 0xbfee6f0e
	s_wait_alu 0xfffe
	s_mov_b32 s8, s0
	s_wait_dscnt 0x4
	v_mul_f64_e32 v[220:221], v[198:199], v[81:82]
	s_wait_dscnt 0x3
	v_mul_f64_e32 v[86:87], v[202:203], v[86:87]
	v_mul_f64_e32 v[90:91], v[200:201], v[90:91]
	;; [unrolled: 1-line block ×5, first 2 shown]
	s_wait_dscnt 0x2
	v_mul_f64_e32 v[94:95], v[206:207], v[94:95]
	v_mul_f64_e32 v[98:99], v[204:205], v[98:99]
	v_fma_f64 v[82:83], v[198:199], v[79:80], -v[218:219]
	v_mul_f64_e32 v[218:219], v[46:47], v[114:115]
	v_fma_f64 v[202:203], v[202:203], v[84:85], -v[222:223]
	v_fma_f64 v[124:125], v[194:195], v[71:72], -v[124:125]
	;; [unrolled: 1-line block ×3, first 2 shown]
	v_mul_f64_e32 v[194:195], v[52:53], v[102:103]
	v_fma_f64 v[206:207], v[206:207], v[92:93], -v[226:227]
	v_fma_f64 v[204:205], v[204:205], v[96:97], -v[228:229]
	s_wait_dscnt 0x0
	v_mul_f64_e32 v[102:103], v[210:211], v[102:103]
	v_mul_f64_e32 v[106:107], v[208:209], v[106:107]
	;; [unrolled: 1-line block ×4, first 2 shown]
	v_fma_f64 v[0:1], v[192:193], v[67:68], -v[0:1]
	v_fma_f64 v[208:209], v[208:209], v[104:105], -v[237:238]
	v_mul_hi_u32 v81, 0x44d72045, v234
	s_delay_alu instid0(VALU_DEP_1)
	v_lshrrev_b32_e32 v81, 5, v81
	v_fma_f64 v[240:241], v[40:41], v[79:80], v[220:221]
	v_fma_f64 v[220:221], v[60:61], v[84:85], v[86:87]
	v_mul_f64_e32 v[84:85], v[212:213], v[114:115]
	v_fma_f64 v[114:115], v[200:201], v[88:89], -v[224:225]
	v_fma_f64 v[58:59], v[58:59], v[88:89], v[90:91]
	s_wait_loadcnt 0xf
	v_mul_f64_e32 v[90:91], v[10:11], v[118:119]
	s_wait_loadcnt 0xd
	v_mul_f64_e32 v[200:201], v[6:7], v[122:123]
	v_fma_f64 v[192:193], v[42:43], v[67:68], v[62:63]
	v_fma_f64 v[235:236], v[44:45], v[71:72], v[73:74]
	ds_load_2addr_b64 v[42:45], v126 offset0:101 offset1:118
	v_fma_f64 v[216:217], v[38:39], v[75:76], v[77:78]
	ds_load_2addr_b64 v[71:74], v239 offset0:119 offset1:136
	ds_load_2addr_b64 v[75:78], v126 offset0:33 offset1:50
	;; [unrolled: 1-line block ×3, first 2 shown]
	v_fma_f64 v[92:93], v[56:57], v[92:93], v[94:95]
	v_fma_f64 v[96:97], v[54:55], v[96:97], v[98:99]
	v_mul_f64_e32 v[98:99], v[32:33], v[142:143]
	ds_load_2addr_b64 v[67:70], v239 offset0:153 offset1:170
	ds_load_2addr_b64 v[60:63], v126 offset0:135 offset1:152
	v_add_nc_u32_e32 v79, 0x400, v239
	ds_load_2addr_b64 v[54:57], v126 offset0:237 offset1:254
	v_fma_f64 v[194:195], v[210:211], v[100:101], -v[194:195]
	v_fma_f64 v[52:53], v[52:53], v[100:101], v[102:103]
	v_fma_f64 v[50:51], v[50:51], v[104:105], v[106:107]
	;; [unrolled: 1-line block ×3, first 2 shown]
	s_wait_dscnt 0x6
	v_mul_f64_e32 v[118:119], v[42:43], v[118:119]
	s_wait_dscnt 0x5
	v_mul_f64_e32 v[94:95], v[71:72], v[122:123]
	s_wait_loadcnt 0xc
	v_mul_f64_e32 v[122:123], v[36:37], v[138:139]
	s_wait_dscnt 0x3
	v_mul_f64_e32 v[142:143], v[40:41], v[142:143]
	v_mul_f64_e32 v[138:139], v[77:78], v[138:139]
	v_mov_b32_e32 v126, v240
	ds_load_2addr_b64 v[86:89], v79 offset0:127 offset1:144
	v_fma_f64 v[46:47], v[46:47], v[112:113], v[84:85]
	v_mad_co_u64_u32 v[84:85], null, s2, v232, 0
	v_fma_f64 v[90:91], v[42:43], v[116:117], -v[90:91]
	v_fma_f64 v[71:72], v[71:72], v[120:121], -v[200:201]
	v_mov_b32_e32 v127, v241
	v_fma_f64 v[98:99], v[40:41], v[140:141], -v[98:99]
	ds_load_2addr_b64 v[40:43], v239 offset0:85 offset1:102
	v_fma_f64 v[116:117], v[10:11], v[116:117], v[118:119]
	v_fma_f64 v[6:7], v[6:7], v[120:121], v[94:95]
	v_fma_f64 v[77:78], v[77:78], v[136:137], -v[122:123]
	v_fma_f64 v[79:80], v[32:33], v[140:141], v[142:143]
	v_fma_f64 v[36:37], v[36:37], v[136:137], v[138:139]
	v_mul_lo_u32 v32, s3, v232
	v_mul_lo_u32 v33, s2, v233
	ds_load_b64 v[140:141], v66
	s_mov_b32 s2, 0x4755a5e
	s_mov_b32 s3, 0xbfe2cf23
	s_wait_alu 0xfffe
	s_mov_b32 s4, s2
	v_add_f64_e64 v[142:143], v[124:125], -v[71:72]
	v_add3_u32 v85, v85, v33, v32
	s_wait_loadcnt 0xb
	v_mul_f64_e32 v[222:223], v[34:35], v[146:147]
	v_mul_f64_e32 v[146:147], v[75:76], v[146:147]
	s_wait_loadcnt 0xa
	v_mul_f64_e32 v[210:211], v[30:31], v[150:151]
	v_mul_f64_e32 v[150:151], v[38:39], v[150:151]
	s_wait_loadcnt 0x8
	v_mul_f64_e32 v[100:101], v[24:25], v[158:159]
	s_wait_dscnt 0x5
	v_mul_f64_e32 v[106:107], v[69:70], v[158:159]
	v_fma_f64 v[158:159], v[214:215], v[108:109], -v[198:199]
	v_fma_f64 v[198:199], v[212:213], v[112:113], -v[218:219]
	v_mul_f64_e32 v[102:103], v[28:29], v[154:155]
	s_wait_dscnt 0x4
	v_mul_f64_e32 v[104:105], v[62:63], v[154:155]
	v_add_f64_e64 v[214:215], v[50:51], -v[79:80]
	v_add_f64_e64 v[218:219], v[46:47], -v[36:37]
	s_wait_loadcnt 0x7
	v_mul_f64_e32 v[154:155], v[20:21], v[162:163]
	s_wait_loadcnt 0x6
	v_mul_f64_e32 v[212:213], v[16:17], v[166:167]
	;; [unrolled: 2-line block ×4, first 2 shown]
	v_mul_f64_e32 v[110:111], v[26:27], v[170:171]
	v_mul_f64_e32 v[170:171], v[67:68], v[174:175]
	s_wait_dscnt 0x2
	v_mul_f64_e32 v[162:163], v[88:89], v[162:163]
	v_mul_f64_e32 v[166:167], v[56:57], v[166:167]
	s_wait_loadcnt 0x3
	v_mul_f64_e32 v[174:175], v[18:19], v[178:179]
	s_wait_loadcnt 0x2
	;; [unrolled: 2-line block ×3, first 2 shown]
	v_mul_f64_e32 v[118:119], v[12:13], v[186:187]
	v_mul_f64_e32 v[122:123], v[44:45], v[186:187]
	;; [unrolled: 1-line block ×4, first 2 shown]
	s_wait_loadcnt 0x0
	v_mul_f64_e32 v[138:139], v[54:55], v[190:191]
	v_add_f64_e32 v[178:179], v[48:49], v[96:97]
	v_add_f64_e32 v[186:187], v[2:3], v[48:49]
	v_mul_f64_e32 v[94:95], v[14:15], v[190:191]
	v_add_f64_e64 v[182:183], v[96:97], -v[52:53]
	v_add_f64_e64 v[190:191], v[208:209], -v[98:99]
	v_fma_f64 v[75:76], v[75:76], v[144:145], -v[222:223]
	v_fma_f64 v[34:35], v[34:35], v[144:145], v[146:147]
	v_add_f64_e64 v[144:145], v[90:91], -v[82:83]
	v_fma_f64 v[32:33], v[30:31], v[148:149], v[150:151]
	v_fma_f64 v[69:70], v[69:70], v[156:157], -v[100:101]
	v_fma_f64 v[38:39], v[38:39], v[148:149], -v[210:211]
	v_fma_f64 v[24:25], v[24:25], v[156:157], v[106:107]
	s_wait_dscnt 0x1
	v_add_f64_e32 v[100:101], v[0:1], v[42:43]
	v_fma_f64 v[62:63], v[62:63], v[152:153], -v[102:103]
	v_fma_f64 v[28:29], v[28:29], v[152:153], v[104:105]
	v_add_f64_e64 v[146:147], v[71:72], -v[124:125]
	v_add_f64_e64 v[148:149], v[82:83], -v[90:91]
	v_add_f64_e64 v[150:151], v[235:236], -v[6:7]
	v_add_f64_e32 v[152:153], v[158:159], v[204:205]
	v_add_f64_e64 v[156:157], v[116:117], -v[240:241]
	v_fma_f64 v[88:89], v[88:89], v[160:161], -v[154:155]
	v_fma_f64 v[102:103], v[56:57], v[164:165], -v[212:213]
	v_fma_f64 v[26:27], v[26:27], v[168:169], v[112:113]
	v_add_f64_e32 v[112:113], v[192:193], v[92:93]
	v_fma_f64 v[60:61], v[60:61], v[168:169], -v[110:111]
	v_fma_f64 v[22:23], v[22:23], v[172:173], v[170:171]
	v_fma_f64 v[20:21], v[20:21], v[160:161], v[162:163]
	v_fma_f64 v[106:107], v[16:17], v[164:165], v[166:167]
	v_fma_f64 v[16:17], v[86:87], v[176:177], -v[174:175]
	v_fma_f64 v[8:9], v[8:9], v[180:181], v[136:137]
	v_fma_f64 v[44:45], v[44:45], v[184:185], -v[118:119]
	v_fma_f64 v[12:13], v[12:13], v[184:185], v[122:123]
	v_add_f64_e32 v[136:137], v[220:221], v[216:217]
	v_add_f64_e32 v[184:185], v[58:59], v[52:53]
	v_fma_f64 v[122:123], v[14:15], v[188:189], v[138:139]
	v_add_f64_e32 v[138:139], v[4:5], v[192:193]
	v_fma_f64 v[10:11], v[73:74], v[180:181], -v[10:11]
	v_fma_f64 v[110:111], v[54:55], v[188:189], -v[94:95]
	v_fma_f64 v[18:19], v[18:19], v[176:177], v[120:121]
	v_add_f64_e64 v[14:15], v[202:203], -v[0:1]
	v_add_f64_e64 v[54:55], v[196:197], -v[206:207]
	v_add_f64_e32 v[56:57], v[0:1], v[206:207]
	v_add_f64_e32 v[94:95], v[202:203], v[196:197]
	;; [unrolled: 1-line block ×3, first 2 shown]
	v_add_f64_e64 v[160:161], v[6:7], -v[235:236]
	v_add_f64_e32 v[30:31], v[142:143], v[144:145]
	v_add_f64_e64 v[162:163], v[240:241], -v[116:117]
	v_add_f64_e64 v[164:165], v[114:115], -v[158:159]
	;; [unrolled: 1-line block ×15, first 2 shown]
	v_fma_f64 v[112:113], v[112:113], -0.5, v[4:5]
	v_fma_f64 v[66:67], v[67:68], v[172:173], -v[108:109]
	v_add_f64_e64 v[73:74], v[0:1], -v[202:203]
	v_add_f64_e64 v[86:87], v[206:207], -v[196:197]
	;; [unrolled: 1-line block ×6, first 2 shown]
	v_add_f64_e32 v[172:173], v[158:159], v[40:41]
	v_add_f64_e64 v[241:242], v[24:25], -v[34:35]
	v_add_f64_e64 v[243:244], v[32:33], -v[28:29]
	v_add_f64_e32 v[146:147], v[146:147], v[148:149]
	v_add_f64_e32 v[150:151], v[150:151], v[156:157]
	v_add_f64_e64 v[148:149], v[10:11], -v[16:17]
	v_add_f64_e64 v[156:157], v[110:111], -v[44:45]
	v_add_f64_e32 v[100:101], v[202:203], v[100:101]
	v_add_f64_e64 v[228:229], v[69:70], -v[75:76]
	v_add_f64_e32 v[54:55], v[14:15], v[54:55]
	v_fma_f64 v[56:57], v[56:57], -0.5, v[42:43]
	v_fma_f64 v[42:43], v[94:95], -0.5, v[42:43]
	;; [unrolled: 1-line block ×4, first 2 shown]
	scratch_store_b64 off, v[30:31], off    ; 8-byte Folded Spill
	v_fma_f64 v[30:31], v[136:137], -0.5, v[4:5]
	v_fma_f64 v[136:137], v[178:179], -0.5, v[2:3]
	;; [unrolled: 1-line block ×3, first 2 shown]
	ds_load_b64 v[2:3], v65
	ds_load_b64 v[64:65], v64
	scratch_load_b32 v4, off, off offset:16 th:TH_LOAD_LU ; 4-byte Folded Reload
	v_add_f64_e64 v[154:155], v[20:21], -v[22:23]
	v_add_f64_e64 v[14:15], v[26:27], -v[106:107]
	v_add_f64_e32 v[160:161], v[160:161], v[162:163]
	v_add_f64_e64 v[162:163], v[18:19], -v[8:9]
	v_add_f64_e32 v[164:165], v[164:165], v[166:167]
	;; [unrolled: 2-line block ×5, first 2 shown]
	v_add_f64_e32 v[182:183], v[71:72], v[82:83]
	v_add_f64_e32 v[188:189], v[188:189], v[190:191]
	v_add_f64_e32 v[190:191], v[124:125], v[90:91]
	v_add_f64_e32 v[200:201], v[200:201], v[210:211]
	v_add_f64_e32 v[210:211], v[6:7], v[126:127]
	v_add_f64_e32 v[212:213], v[212:213], v[214:215]
	v_add_f64_e32 v[214:215], v[235:236], v[116:117]
	v_add_f64_e32 v[218:219], v[218:219], v[222:223]
	v_add_f64_e32 v[222:223], v[198:199], v[98:99]
	v_add_f64_e32 v[224:225], v[224:225], v[226:227]
	v_add_f64_e32 v[226:227], v[77:78], v[208:209]
	v_add_f64_e64 v[232:233], v[38:39], -v[62:63]
	v_add_f64_e64 v[237:238], v[34:35], -v[24:25]
	;; [unrolled: 1-line block ×7, first 2 shown]
	v_add_f64_e32 v[73:74], v[73:74], v[86:87]
	v_add_f64_e64 v[86:87], v[22:23], -v[20:21]
	v_add_f64_e32 v[104:105], v[104:105], v[108:109]
	v_add_f64_e64 v[108:109], v[106:107], -v[26:27]
	;; [unrolled: 2-line block ×3, first 2 shown]
	v_add_f64_e64 v[144:145], v[44:45], -v[110:111]
	v_add_f64_e32 v[241:242], v[241:242], v[243:244]
	v_add_f64_e32 v[243:244], v[69:70], v[38:39]
	;; [unrolled: 1-line block ×6, first 2 shown]
	v_add_f64_e64 v[202:203], v[202:203], -v[196:197]
	v_add_f64_e32 v[162:163], v[162:163], v[166:167]
	v_add_f64_e32 v[166:167], v[88:89], v[60:61]
	;; [unrolled: 1-line block ×9, first 2 shown]
	v_mov_b32_e32 v143, v127
	v_fma_f64 v[210:211], v[210:211], -0.5, v[128:129]
	v_mov_b32_e32 v142, v126
	v_fma_f64 v[214:215], v[214:215], -0.5, v[128:129]
	v_add_f64_e32 v[128:129], v[128:129], v[6:7]
	s_wait_dscnt 0x2
	v_fma_f64 v[222:223], v[222:223], -0.5, v[140:141]
	v_add_f64_e64 v[58:59], v[58:59], -v[52:53]
	v_fma_f64 v[226:227], v[226:227], -0.5, v[140:141]
	v_add_f64_e32 v[140:141], v[198:199], v[140:141]
	v_add_f64_e32 v[228:229], v[228:229], v[232:233]
	;; [unrolled: 1-line block ×9, first 2 shown]
	v_add_f64_e64 v[6:7], v[6:7], -v[142:143]
	v_add_f64_e32 v[108:109], v[86:87], v[108:109]
	v_add_f64_e32 v[86:87], v[22:23], v[106:107]
	v_add_f64_e64 v[220:221], v[220:221], -v[216:217]
	v_add_f64_e32 v[120:121], v[120:121], v[144:145]
	v_add_f64_e32 v[144:145], v[20:21], v[26:27]
	s_wait_dscnt 0x1
	v_fma_f64 v[243:244], v[243:244], -0.5, v[2:3]
	v_add_f64_e64 v[114:115], v[114:115], -v[194:195]
	v_add_f64_e64 v[192:193], v[192:193], -v[92:93]
	v_fma_f64 v[14:15], v[14:15], -0.5, v[2:3]
	v_add_f64_e32 v[2:3], v[69:70], v[2:3]
	s_wait_dscnt 0x0
	v_fma_f64 v[156:157], v[156:157], -0.5, v[64:65]
	v_add_f64_e64 v[48:49], v[48:49], -v[96:97]
	v_fma_f64 v[166:167], v[166:167], -0.5, v[64:65]
	v_add_f64_e32 v[64:65], v[66:67], v[64:65]
	v_add_f64_e32 v[138:139], v[138:139], v[216:217]
	;; [unrolled: 1-line block ×5, first 2 shown]
	v_add_f64_e64 v[158:159], v[158:159], -v[204:205]
	v_add_f64_e32 v[52:53], v[186:187], v[52:53]
	v_add_f64_e32 v[186:187], v[253:254], v[8:9]
	v_add_f64_e64 v[68:69], v[69:70], -v[38:39]
	v_add_f64_e64 v[198:199], v[198:199], -v[98:99]
	;; [unrolled: 1-line block ×3, first 2 shown]
	v_add_f64_e32 v[128:129], v[235:236], v[128:129]
	v_add_f64_e64 v[235:236], v[235:236], -v[116:117]
	v_add_f64_e32 v[140:141], v[77:78], v[140:141]
	v_add_f64_e64 v[77:78], v[77:78], -v[208:209]
	v_fma_f64 v[232:233], v[232:233], -0.5, v[134:135]
	v_fma_f64 v[239:240], v[239:240], -0.5, v[134:135]
	v_add_f64_e32 v[134:135], v[134:135], v[46:47]
	v_fma_f64 v[247:248], v[247:248], -0.5, v[132:133]
	v_add_f64_e64 v[46:47], v[46:47], -v[79:80]
	v_fma_f64 v[249:250], v[249:250], -0.5, v[132:133]
	v_add_f64_e32 v[132:133], v[132:133], v[24:25]
	v_add_f64_e64 v[24:25], v[24:25], -v[32:33]
	v_fma_f64 v[86:87], v[86:87], -0.5, v[130:131]
	v_fma_f64 v[144:145], v[144:145], -0.5, v[130:131]
	v_add_f64_e32 v[130:131], v[130:131], v[22:23]
	v_add_f64_e64 v[22:23], v[22:23], -v[106:107]
	v_add_f64_e32 v[126:127], v[75:76], v[2:3]
	v_add_f64_e64 v[2:3], v[8:9], -v[122:123]
	v_add_f64_e64 v[8:9], v[10:11], -v[110:111]
	;; [unrolled: 1-line block ×3, first 2 shown]
	v_add_f64_e32 v[64:65], v[88:89], v[64:65]
	v_add_f64_e64 v[88:89], v[88:89], -v[60:61]
	v_add_f64_e32 v[140:141], v[208:209], v[140:141]
	v_add_f64_e32 v[134:135], v[36:37], v[134:135]
	v_add_f64_e64 v[36:37], v[36:37], -v[50:51]
	v_add_f64_e32 v[132:133], v[34:35], v[132:133]
	v_add_f64_e64 v[34:35], v[34:35], -v[28:29]
	;; [unrolled: 2-line block ×3, first 2 shown]
	v_add_f64_e32 v[62:63], v[62:63], v[126:127]
	v_fma_f64 v[126:127], v[48:49], s[8:9], v[40:41]
	v_fma_f64 v[40:41], v[48:49], s[0:1], v[40:41]
	v_add_f64_e32 v[50:51], v[134:135], v[50:51]
	v_fma_f64 v[134:135], v[58:59], s[0:1], v[94:95]
	v_fma_f64 v[94:95], v[58:59], s[8:9], v[94:95]
	;; [unrolled: 3-line block ×4, first 2 shown]
	s_wait_alu 0xfffe
	v_fma_f64 v[40:41], v[58:59], s[4:5], v[40:41]
	v_fma_f64 v[134:135], v[48:49], s[2:3], v[134:135]
	;; [unrolled: 1-line block ×7, first 2 shown]
	s_delay_alu instid0(VALU_DEP_4) | instskip(NEXT) | instid1(VALU_DEP_4)
	v_fma_f64 v[94:95], v[88:89], s[4:5], v[94:95]
	v_fma_f64 v[144:145], v[88:89], s[2:3], v[144:145]
	s_wait_loadcnt 0x0
	ds_load_b64 v[184:185], v4
	scratch_load_b32 v4, off, off offset:12 th:TH_LOAD_LU ; 4-byte Folded Reload
	s_wait_dscnt 0x0
	v_fma_f64 v[176:177], v[176:177], -0.5, v[184:185]
	v_fma_f64 v[196:197], v[196:197], -0.5, v[184:185]
	v_add_f64_e32 v[184:185], v[10:11], v[184:185]
	s_delay_alu instid0(VALU_DEP_1)
	v_add_f64_e32 v[10:11], v[16:17], v[184:185]
	v_add_f64_e32 v[184:185], v[138:139], v[92:93]
	v_fma_f64 v[92:93], v[192:193], s[8:9], v[42:43]
	v_fma_f64 v[42:43], v[192:193], s[0:1], v[42:43]
	v_add_f64_e64 v[16:17], v[16:17], -v[44:45]
	v_add_f64_e32 v[10:11], v[44:45], v[10:11]
	v_fma_f64 v[44:45], v[46:47], s[8:9], v[226:227]
	v_fma_f64 v[92:93], v[220:221], s[2:3], v[92:93]
	;; [unrolled: 1-line block ×3, first 2 shown]
	s_wait_loadcnt 0x0
	ds_load_b64 v[251:252], v4
	v_dual_mov_b32 v4, v253 :: v_dual_mov_b32 v5, v254
	v_add_f64_e64 v[253:254], v[0:1], -v[206:207]
	v_add_f64_e64 v[0:1], v[18:19], -v[12:13]
	v_add_f64_e32 v[18:19], v[18:19], v[186:187]
	v_add_f64_e32 v[186:187], v[206:207], v[100:101]
	v_fma_f64 v[100:101], v[202:203], s[8:9], v[112:113]
	v_fma_f64 v[112:113], v[202:203], s[0:1], v[112:113]
	v_add_f64_e32 v[206:207], v[204:205], v[172:173]
	v_add_f64_e32 v[204:205], v[52:53], v[96:97]
	v_fma_f64 v[216:217], v[216:217], -0.5, v[4:5]
	v_fma_f64 v[194:195], v[194:195], -0.5, v[4:5]
	v_fma_f64 v[4:5], v[220:221], s[0:1], v[56:57]
	v_fma_f64 v[56:57], v[220:221], s[8:9], v[56:57]
	;; [unrolled: 1-line block ×3, first 2 shown]
	s_wait_dscnt 0x0
	v_fma_f64 v[182:183], v[182:183], -0.5, v[251:252]
	v_fma_f64 v[190:191], v[190:191], -0.5, v[251:252]
	v_add_f64_e32 v[251:252], v[71:72], v[251:252]
	v_add_f64_e64 v[71:72], v[71:72], -v[82:83]
	v_fma_f64 v[52:53], v[253:254], s[0:1], v[30:31]
	v_fma_f64 v[30:31], v[253:254], s[8:9], v[30:31]
	;; [unrolled: 1-line block ×11, first 2 shown]
	v_add_f64_e32 v[251:252], v[124:125], v[251:252]
	v_add_f64_e64 v[124:125], v[124:125], -v[90:91]
	v_fma_f64 v[182:183], v[6:7], s[0:1], v[190:191]
	v_fma_f64 v[208:209], v[71:72], s[0:1], v[214:215]
	;; [unrolled: 1-line block ×9, first 2 shown]
	v_add_f64_e32 v[172:173], v[90:91], v[251:252]
	v_fma_f64 v[90:91], v[6:7], s[8:9], v[190:191]
	v_add_f64_e32 v[190:191], v[128:129], v[116:117]
	v_fma_f64 v[116:117], v[124:125], s[8:9], v[210:211]
	v_fma_f64 v[128:129], v[124:125], s[0:1], v[210:211]
	;; [unrolled: 1-line block ×7, first 2 shown]
	v_add_f64_e32 v[214:215], v[60:61], v[64:65]
	v_fma_f64 v[60:61], v[158:159], s[0:1], v[178:179]
	v_fma_f64 v[64:65], v[158:159], s[8:9], v[178:179]
	v_fma_f64 v[178:179], v[36:37], s[8:9], v[222:223]
	v_fma_f64 v[222:223], v[46:47], s[0:1], v[226:227]
	v_add_f64_e32 v[226:227], v[18:19], v[12:13]
	v_fma_f64 v[12:13], v[77:78], s[8:9], v[232:233]
	v_fma_f64 v[18:19], v[77:78], s[0:1], v[232:233]
	;; [unrolled: 1-line block ×24, first 2 shown]
	s_mov_b32 s0, 0x372fe950
	s_mov_b32 s1, 0x3fd3c6ef
	v_fma_f64 v[77:78], v[77:78], s[2:3], v[232:233]
	v_fma_f64 v[232:233], v[34:35], s[2:3], v[243:244]
	;; [unrolled: 1-line block ×6, first 2 shown]
	v_add_f64_e32 v[222:223], v[38:39], v[62:63]
	v_fma_f64 v[38:39], v[68:69], s[4:5], v[202:203]
	v_add_f64_e32 v[44:45], v[50:51], v[79:80]
	v_fma_f64 v[79:80], v[24:25], s[2:3], v[220:221]
	v_fma_f64 v[68:69], v[68:69], s[2:3], v[247:248]
	;; [unrolled: 1-line block ×3, first 2 shown]
	v_add_f64_e32 v[46:47], v[98:99], v[140:141]
	v_fma_f64 v[98:99], v[198:199], s[4:5], v[12:13]
	v_fma_f64 v[140:141], v[198:199], s[2:3], v[18:19]
	;; [unrolled: 1-line block ×3, first 2 shown]
	s_wait_alu 0xfffe
	v_fma_f64 v[12:13], v[104:105], s[0:1], v[100:101]
	v_fma_f64 v[198:199], v[24:25], s[4:5], v[239:240]
	v_add_f64_e32 v[220:221], v[28:29], v[32:33]
	v_fma_f64 v[28:29], v[174:175], s[0:1], v[132:133]
	v_fma_f64 v[202:203], v[75:76], s[4:5], v[6:7]
	;; [unrolled: 1-line block ×23, first 2 shown]
	v_mul_lo_u32 v36, 0x77, v81
	v_fma_f64 v[156:157], v[22:23], s[4:5], v[156:157]
	v_fma_f64 v[22:23], v[73:74], s[0:1], v[42:43]
	;; [unrolled: 1-line block ×7, first 2 shown]
	v_sub_nc_u32_e32 v70, v234, v36
	v_fma_f64 v[48:49], v[212:213], s[0:1], v[98:99]
	v_fma_f64 v[98:99], v[108:109], s[0:1], v[144:145]
	v_add_f64_e32 v[144:145], v[82:83], v[172:173]
	v_add_nc_u32_e32 v82, 17, v234
	v_add_nc_u32_e32 v39, 0x77, v70
	v_fma_f64 v[52:53], v[212:213], s[0:1], v[140:141]
	v_fma_f64 v[140:141], v[146:147], s[0:1], v[182:183]
	v_add_f64_e32 v[142:143], v[190:191], v[142:143]
	v_fma_f64 v[16:17], v[104:105], s[0:1], v[112:113]
	v_mad_co_u64_u32 v[36:37], null, s16, v39, 0
	v_add_nc_u32_e32 v71, 0xee, v70
	v_fma_f64 v[100:101], v[152:153], s[0:1], v[128:129]
	v_add_f64_e32 v[104:105], v[102:103], v[214:215]
	v_add_f64_e32 v[102:103], v[130:131], v[106:107]
	v_fma_f64 v[86:87], v[154:155], s[0:1], v[124:125]
	v_add_f64_e32 v[124:125], v[110:111], v[10:11]
	scratch_load_b64 v[10:11], off, off th:TH_LOAD_LU ; 8-byte Folded Reload
	v_fma_f64 v[130:131], v[150:151], s[0:1], v[253:254]
	v_add_nc_u32_e32 v83, 0x165, v70
	v_fma_f64 v[110:111], v[162:163], s[0:1], v[8:9]
	v_mad_co_u64_u32 v[8:9], null, s16, v70, 0
	v_fma_f64 v[134:135], v[160:161], s[0:1], v[166:167]
	v_fma_f64 v[196:197], v[0:1], s[4:5], v[196:197]
	;; [unrolled: 1-line block ×5, first 2 shown]
	v_add_f64_e32 v[122:123], v[226:227], v[122:123]
	v_fma_f64 v[96:97], v[75:76], s[2:3], v[96:97]
	v_fma_f64 v[158:159], v[0:1], s[2:3], v[158:159]
	;; [unrolled: 1-line block ×23, first 2 shown]
	s_wait_loadcnt 0x0
	v_fma_f64 v[128:129], v[10:11], s[0:1], v[251:252]
	v_fma_f64 v[132:133], v[10:11], s[0:1], v[138:139]
	v_mad_co_u64_u32 v[9:10], null, s17, v70, v[9:10]
	v_lshlrev_b64_e32 v[10:11], 4, v[84:85]
	v_fma_f64 v[138:139], v[160:161], s[0:1], v[208:209]
	v_add_nc_u32_e32 v85, 0x1dc, v70
	s_delay_alu instid0(VALU_DEP_3) | instskip(SKIP_4) | instid1(VALU_DEP_3)
	v_add_co_u32 v80, vcc_lo, s6, v10
	v_mov_b32_e32 v10, v37
	v_mad_co_u64_u32 v[68:69], null, s16, v71, 0
	s_wait_alu 0xfffd
	v_add_co_ci_u32_e32 v81, vcc_lo, s7, v11, vcc_lo
	v_mad_co_u64_u32 v[10:11], null, s17, v39, v[10:11]
	v_lshlrev_b64_e32 v[37:38], 4, v[230:231]
	v_lshlrev_b64_e32 v[8:9], 4, v[8:9]
	v_mov_b32_e32 v11, v69
	v_mul_hi_u32 v69, 0x44d72045, v82
	s_delay_alu instid0(VALU_DEP_4) | instskip(SKIP_1) | instid1(VALU_DEP_4)
	v_add_co_u32 v80, vcc_lo, v80, v37
	v_mov_b32_e32 v37, v10
	v_mad_co_u64_u32 v[10:11], null, s17, v71, v[11:12]
	s_delay_alu instid0(VALU_DEP_4) | instskip(SKIP_3) | instid1(VALU_DEP_3)
	v_lshrrev_b32_e32 v84, 5, v69
	s_wait_alu 0xfffd
	v_add_co_ci_u32_e32 v81, vcc_lo, v81, v38, vcc_lo
	v_mad_co_u64_u32 v[38:39], null, s16, v83, 0
	v_mul_lo_u32 v11, 0x77, v84
	v_mov_b32_e32 v69, v10
	v_mad_co_u64_u32 v[70:71], null, s16, v85, 0
	v_lshlrev_b64_e32 v[36:37], 4, v[36:37]
	v_add_co_u32 v8, vcc_lo, v80, v8
	v_mov_b32_e32 v10, v39
	v_sub_nc_u32_e32 v11, v82, v11
	v_lshlrev_b64_e32 v[68:69], 4, v[68:69]
	s_wait_alu 0xfffd
	v_add_co_ci_u32_e32 v9, vcc_lo, v81, v9, vcc_lo
	v_add_co_u32 v36, vcc_lo, v80, v36
	v_mad_co_u64_u32 v[82:83], null, s17, v83, v[10:11]
	v_mov_b32_e32 v10, v71
	v_mad_co_u64_u32 v[83:84], null, 0x253, v84, v[11:12]
	s_wait_alu 0xfffd
	v_add_co_ci_u32_e32 v37, vcc_lo, v81, v37, vcc_lo
	v_add_co_u32 v68, vcc_lo, v80, v68
	s_wait_alu 0xfffd
	v_add_co_ci_u32_e32 v69, vcc_lo, v81, v69, vcc_lo
	v_mad_co_u64_u32 v[10:11], null, s17, v85, v[10:11]
	v_mad_co_u64_u32 v[84:85], null, s16, v83, 0
	global_store_b128 v[8:9], v[142:145], off
	v_mov_b32_e32 v39, v82
	s_clause 0x1
	global_store_b128 v[36:37], v[138:141], off
	global_store_b128 v[68:69], v[130:133], off
	v_dual_mov_b32 v71, v10 :: v_dual_add_nc_u32 v68, 0x77, v83
	v_lshlrev_b64_e32 v[8:9], 4, v[38:39]
	s_delay_alu instid0(VALU_DEP_2) | instskip(SKIP_1) | instid1(VALU_DEP_4)
	v_mad_co_u64_u32 v[36:37], null, s16, v68, 0
	v_mov_b32_e32 v10, v85
	v_lshlrev_b64_e32 v[38:39], 4, v[70:71]
	s_delay_alu instid0(VALU_DEP_4)
	v_add_co_u32 v8, vcc_lo, v80, v8
	s_wait_alu 0xfffd
	v_add_co_ci_u32_e32 v9, vcc_lo, v81, v9, vcc_lo
	v_mad_co_u64_u32 v[10:11], null, s17, v83, v[10:11]
	v_dual_mov_b32 v11, v37 :: v_dual_add_nc_u32 v82, 34, v234
	v_add_co_u32 v37, vcc_lo, v80, v38
	s_wait_alu 0xfffd
	v_add_co_ci_u32_e32 v38, vcc_lo, v81, v39, vcc_lo
	s_delay_alu instid0(VALU_DEP_4)
	v_mov_b32_e32 v85, v10
	v_mad_co_u64_u32 v[10:11], null, s17, v68, v[11:12]
	v_add_nc_u32_e32 v68, 0xee, v83
	v_mul_hi_u32 v11, 0x44d72045, v82
	s_clause 0x1
	global_store_b128 v[8:9], v[126:129], off
	global_store_b128 v[37:38], v[134:137], off
	v_lshlrev_b64_e32 v[8:9], 4, v[84:85]
	v_add_nc_u32_e32 v85, 0x165, v83
	v_mov_b32_e32 v37, v10
	v_mad_co_u64_u32 v[38:39], null, s16, v68, 0
	v_lshrrev_b32_e32 v84, 5, v11
	v_add_co_u32 v8, vcc_lo, v80, v8
	s_delay_alu instid0(VALU_DEP_4) | instskip(SKIP_4) | instid1(VALU_DEP_4)
	v_lshlrev_b64_e32 v[10:11], 4, v[36:37]
	s_wait_alu 0xfffd
	v_add_co_ci_u32_e32 v9, vcc_lo, v81, v9, vcc_lo
	v_mov_b32_e32 v36, v39
	v_mul_lo_u32 v39, 0x77, v84
	v_add_co_u32 v10, vcc_lo, v80, v10
	s_delay_alu instid0(VALU_DEP_3)
	v_mad_co_u64_u32 v[36:37], null, s17, v68, v[36:37]
	v_add_nc_u32_e32 v126, 0x1dc, v83
	v_mad_co_u64_u32 v[68:69], null, s16, v85, 0
	v_sub_nc_u32_e32 v37, v82, v39
	s_wait_alu 0xfffd
	v_add_co_ci_u32_e32 v11, vcc_lo, v81, v11, vcc_lo
	v_mov_b32_e32 v39, v36
	v_mad_co_u64_u32 v[70:71], null, s16, v126, 0
	v_mad_co_u64_u32 v[82:83], null, 0x253, v84, v[37:38]
	s_delay_alu instid0(VALU_DEP_3) | instskip(SKIP_3) | instid1(VALU_DEP_1)
	v_lshlrev_b64_e32 v[38:39], 4, v[38:39]
	v_mov_b32_e32 v36, v69
	global_store_b128 v[8:9], v[122:125], off
	v_mov_b32_e32 v37, v71
	v_mad_co_u64_u32 v[83:84], null, s17, v85, v[36:37]
	v_mad_co_u64_u32 v[36:37], null, s17, v126, v[37:38]
	v_mad_co_u64_u32 v[84:85], null, s16, v82, 0
	v_add_co_u32 v37, vcc_lo, v80, v38
	s_wait_alu 0xfffd
	v_add_co_ci_u32_e32 v38, vcc_lo, v81, v39, vcc_lo
	s_delay_alu instid0(VALU_DEP_4)
	v_mov_b32_e32 v71, v36
	v_mov_b32_e32 v69, v83
	s_clause 0x1
	global_store_b128 v[10:11], v[118:121], off
	global_store_b128 v[37:38], v[110:113], off
	v_mov_b32_e32 v10, v85
	v_add_nc_u32_e32 v110, 0xee, v82
	v_lshlrev_b64_e32 v[36:37], 4, v[70:71]
	v_add_nc_u32_e32 v71, 0x77, v82
	v_lshlrev_b64_e32 v[8:9], 4, v[68:69]
	v_mad_co_u64_u32 v[10:11], null, s17, v82, v[10:11]
	v_mad_co_u64_u32 v[68:69], null, s16, v110, 0
	s_delay_alu instid0(VALU_DEP_4) | instskip(NEXT) | instid1(VALU_DEP_4)
	v_mad_co_u64_u32 v[38:39], null, s16, v71, 0
	v_add_co_u32 v8, vcc_lo, v80, v8
	s_delay_alu instid0(VALU_DEP_4) | instskip(SKIP_2) | instid1(VALU_DEP_4)
	v_mov_b32_e32 v85, v10
	s_wait_alu 0xfffd
	v_add_co_ci_u32_e32 v9, vcc_lo, v81, v9, vcc_lo
	v_dual_mov_b32 v11, v69 :: v_dual_mov_b32 v10, v39
	s_delay_alu instid0(VALU_DEP_3)
	v_lshlrev_b64_e32 v[69:70], 4, v[84:85]
	v_add_co_u32 v36, vcc_lo, v80, v36
	s_wait_alu 0xfffd
	v_add_co_ci_u32_e32 v37, vcc_lo, v81, v37, vcc_lo
	v_mad_co_u64_u32 v[83:84], null, s17, v71, v[10:11]
	v_mad_co_u64_u32 v[10:11], null, s17, v110, v[11:12]
	v_add_nc_u32_e32 v11, 0x165, v82
	v_add_co_u32 v84, vcc_lo, v80, v69
	v_add_nc_u32_e32 v110, 51, v234
	s_wait_alu 0xfffd
	v_add_co_ci_u32_e32 v85, vcc_lo, v81, v70, vcc_lo
	v_mad_co_u64_u32 v[70:71], null, s16, v11, 0
	s_delay_alu instid0(VALU_DEP_3)
	v_mul_hi_u32 v111, 0x44d72045, v110
	v_mov_b32_e32 v69, v10
	v_dual_mov_b32 v39, v83 :: v_dual_add_nc_u32 v82, 0x1dc, v82
	s_clause 0x2
	global_store_b128 v[8:9], v[106:109], off
	global_store_b128 v[36:37], v[114:117], off
	global_store_b128 v[84:85], v[102:105], off
	v_mov_b32_e32 v10, v71
	v_lshlrev_b64_e32 v[8:9], 4, v[38:39]
	v_lshrrev_b32_e32 v83, 5, v111
	v_mad_co_u64_u32 v[38:39], null, s16, v82, 0
	s_delay_alu instid0(VALU_DEP_4) | instskip(NEXT) | instid1(VALU_DEP_3)
	v_mad_co_u64_u32 v[10:11], null, s17, v11, v[10:11]
	v_mul_lo_u32 v11, 0x77, v83
	v_lshlrev_b64_e32 v[36:37], 4, v[68:69]
	v_add_co_u32 v8, vcc_lo, v80, v8
	s_wait_alu 0xfffd
	v_add_co_ci_u32_e32 v9, vcc_lo, v81, v9, vcc_lo
	v_mov_b32_e32 v71, v10
	s_delay_alu instid0(VALU_DEP_4) | instskip(SKIP_2) | instid1(VALU_DEP_4)
	v_add_co_u32 v36, vcc_lo, v80, v36
	v_sub_nc_u32_e32 v10, v110, v11
	v_mov_b32_e32 v11, v39
	v_lshlrev_b64_e32 v[68:69], 4, v[70:71]
	s_wait_alu 0xfffd
	v_add_co_ci_u32_e32 v37, vcc_lo, v81, v37, vcc_lo
	global_store_b128 v[8:9], v[98:101], off
	v_mad_co_u64_u32 v[70:71], null, 0x253, v83, v[10:11]
	v_add_co_u32 v68, vcc_lo, v80, v68
	s_wait_alu 0xfffd
	v_add_co_ci_u32_e32 v69, vcc_lo, v81, v69, vcc_lo
	s_clause 0x1
	global_store_b128 v[36:37], v[90:93], off
	global_store_b128 v[68:69], v[86:89], off
	v_add_nc_u32_e32 v86, 0x165, v70
	v_mad_co_u64_u32 v[10:11], null, s17, v82, v[11:12]
	v_mad_co_u64_u32 v[82:83], null, s16, v70, 0
	v_add_nc_u32_e32 v84, 0xee, v70
	v_add_nc_u32_e32 v68, 0x77, v70
	v_add_nc_u32_e32 v87, 0x1dc, v70
	s_delay_alu instid0(VALU_DEP_4) | instskip(NEXT) | instid1(VALU_DEP_3)
	v_dual_mov_b32 v39, v10 :: v_dual_mov_b32 v10, v83
	v_mad_co_u64_u32 v[36:37], null, s16, v68, 0
	s_delay_alu instid0(VALU_DEP_2) | instskip(SKIP_1) | instid1(VALU_DEP_4)
	v_lshlrev_b64_e32 v[8:9], 4, v[38:39]
	v_mad_co_u64_u32 v[38:39], null, s16, v84, 0
	v_mad_co_u64_u32 v[10:11], null, s17, v70, v[10:11]
	v_add_nc_u32_e32 v71, 0x44, v234
	v_mov_b32_e32 v11, v37
	v_add_co_u32 v8, vcc_lo, v80, v8
	s_wait_alu 0xfffd
	v_add_co_ci_u32_e32 v9, vcc_lo, v81, v9, vcc_lo
	v_dual_mov_b32 v83, v10 :: v_dual_mov_b32 v10, v39
	v_mul_hi_u32 v69, 0x44d72045, v71
	global_store_b128 v[8:9], v[94:97], off
	v_mad_co_u64_u32 v[8:9], null, s16, v86, 0
	v_lshlrev_b64_e32 v[82:83], 4, v[82:83]
	v_lshrrev_b32_e32 v85, 5, v69
	v_mad_co_u64_u32 v[68:69], null, s17, v68, v[11:12]
	v_mad_co_u64_u32 v[10:11], null, s17, v84, v[10:11]
	s_delay_alu instid0(VALU_DEP_3)
	v_mul_lo_u32 v69, 0x77, v85
	v_add_co_u32 v82, vcc_lo, v80, v82
	s_wait_alu 0xfffd
	v_add_co_ci_u32_e32 v83, vcc_lo, v81, v83, vcc_lo
	v_mov_b32_e32 v37, v68
	v_mov_b32_e32 v39, v10
	v_mad_co_u64_u32 v[9:10], null, s17, v86, v[9:10]
	v_sub_nc_u32_e32 v11, v71, v69
	v_mad_co_u64_u32 v[68:69], null, s16, v87, 0
	v_lshlrev_b64_e32 v[36:37], 4, v[36:37]
	v_lshlrev_b64_e32 v[38:39], 4, v[38:39]
	s_delay_alu instid0(VALU_DEP_4)
	v_mad_co_u64_u32 v[70:71], null, 0x253, v85, v[11:12]
	global_store_b128 v[82:83], v[220:223], off
	v_lshlrev_b64_e32 v[8:9], 4, v[8:9]
	v_mov_b32_e32 v10, v69
	v_add_co_u32 v36, vcc_lo, v80, v36
	s_wait_alu 0xfffd
	v_add_co_ci_u32_e32 v37, vcc_lo, v81, v37, vcc_lo
	v_mad_co_u64_u32 v[84:85], null, s16, v70, 0
	v_mad_co_u64_u32 v[10:11], null, s17, v87, v[10:11]
	global_store_b128 v[36:37], v[76:79], off
	v_add_co_u32 v36, vcc_lo, v80, v38
	s_wait_alu 0xfffd
	v_add_co_ci_u32_e32 v37, vcc_lo, v81, v39, vcc_lo
	v_mov_b32_e32 v11, v85
	v_mov_b32_e32 v69, v10
	v_add_nc_u32_e32 v71, 0x77, v70
	global_store_b128 v[36:37], v[72:75], off
	v_add_nc_u32_e32 v74, 0xee, v70
	v_mad_co_u64_u32 v[10:11], null, s17, v70, v[11:12]
	v_add_nc_u32_e32 v76, 0x55, v234
	v_lshlrev_b64_e32 v[36:37], 4, v[68:69]
	s_delay_alu instid0(VALU_DEP_4) | instskip(SKIP_1) | instid1(VALU_DEP_4)
	v_mad_co_u64_u32 v[68:69], null, s16, v74, 0
	v_add_nc_u32_e32 v77, 0x165, v70
	v_mul_hi_u32 v73, 0x44d72045, v76
	v_mov_b32_e32 v85, v10
	v_mad_co_u64_u32 v[10:11], null, s16, v71, 0
	v_add_co_u32 v8, vcc_lo, v80, v8
	s_delay_alu instid0(VALU_DEP_3)
	v_lshlrev_b64_e32 v[38:39], 4, v[84:85]
	s_wait_alu 0xfffd
	v_add_co_ci_u32_e32 v9, vcc_lo, v81, v9, vcc_lo
	v_lshrrev_b32_e32 v78, 5, v73
	v_mad_co_u64_u32 v[71:72], null, s17, v71, v[11:12]
	v_mov_b32_e32 v11, v69
	v_add_co_u32 v36, vcc_lo, v80, v36
	v_mad_co_u64_u32 v[72:73], null, s16, v77, 0
	s_delay_alu instid0(VALU_DEP_3)
	v_mad_co_u64_u32 v[74:75], null, s17, v74, v[11:12]
	v_mov_b32_e32 v11, v71
	v_mul_lo_u32 v71, 0x77, v78
	s_wait_alu 0xfffd
	v_add_co_ci_u32_e32 v37, vcc_lo, v81, v37, vcc_lo
	v_add_co_u32 v38, vcc_lo, v80, v38
	s_wait_alu 0xfffd
	v_add_co_ci_u32_e32 v39, vcc_lo, v81, v39, vcc_lo
	s_clause 0x2
	global_store_b128 v[8:9], v[60:63], off
	global_store_b128 v[36:37], v[64:67], off
	global_store_b128 v[38:39], v[44:47], off
	v_lshlrev_b64_e32 v[8:9], 4, v[10:11]
	v_mov_b32_e32 v10, v73
	v_sub_nc_u32_e32 v11, v76, v71
	v_add_nc_u32_e32 v39, 0x1dc, v70
	v_mov_b32_e32 v69, v74
	v_add_co_u32 v8, vcc_lo, v80, v8
	s_delay_alu instid0(VALU_DEP_4) | instskip(NEXT) | instid1(VALU_DEP_4)
	v_mad_co_u64_u32 v[36:37], null, s17, v77, v[10:11]
	v_mad_co_u64_u32 v[37:38], null, s16, v39, 0
	;; [unrolled: 1-line block ×3, first 2 shown]
	v_lshlrev_b64_e32 v[44:45], 4, v[68:69]
	s_wait_alu 0xfffd
	v_add_co_ci_u32_e32 v9, vcc_lo, v81, v9, vcc_lo
	v_mov_b32_e32 v73, v36
	v_mov_b32_e32 v11, v38
	s_delay_alu instid0(VALU_DEP_4) | instskip(NEXT) | instid1(VALU_DEP_3)
	v_add_co_u32 v44, vcc_lo, v80, v44
	v_lshlrev_b64_e32 v[60:61], 4, v[72:73]
	s_delay_alu instid0(VALU_DEP_3)
	v_mad_co_u64_u32 v[38:39], null, s17, v39, v[11:12]
	v_add_nc_u32_e32 v39, 0x77, v10
	v_mad_co_u64_u32 v[46:47], null, s16, v10, 0
	s_wait_alu 0xfffd
	v_add_co_ci_u32_e32 v45, vcc_lo, v81, v45, vcc_lo
	v_add_co_u32 v60, vcc_lo, v80, v60
	v_mad_co_u64_u32 v[62:63], null, s16, v39, 0
	s_wait_alu 0xfffd
	v_add_co_ci_u32_e32 v61, vcc_lo, v81, v61, vcc_lo
	v_mov_b32_e32 v11, v47
	s_clause 0x1
	global_store_b128 v[8:9], v[56:59], off
	global_store_b128 v[44:45], v[52:55], off
	v_lshlrev_b64_e32 v[36:37], 4, v[37:38]
	global_store_b128 v[60:61], v[48:51], off
	v_dual_mov_b32 v8, v63 :: v_dual_add_nc_u32 v49, 0x165, v10
	v_mad_co_u64_u32 v[64:65], null, s17, v10, v[11:12]
	v_add_nc_u32_e32 v50, 0x66, v234
	s_delay_alu instid0(VALU_DEP_3) | instskip(NEXT) | instid1(VALU_DEP_4)
	v_mad_co_u64_u32 v[44:45], null, s16, v49, 0
	v_mad_co_u64_u32 v[8:9], null, s17, v39, v[8:9]
	s_delay_alu instid0(VALU_DEP_4) | instskip(SKIP_1) | instid1(VALU_DEP_4)
	v_dual_mov_b32 v47, v64 :: v_dual_add_nc_u32 v48, 0xee, v10
	v_add_co_u32 v36, vcc_lo, v80, v36
	v_mov_b32_e32 v11, v45
	v_mul_hi_u32 v45, 0x44d72045, v50
	v_mov_b32_e32 v63, v8
	v_mad_co_u64_u32 v[8:9], null, s16, v48, 0
	v_lshlrev_b64_e32 v[38:39], 4, v[46:47]
	v_add_nc_u32_e32 v51, 0x1dc, v10
	s_delay_alu instid0(VALU_DEP_4)
	v_lshlrev_b64_e32 v[46:47], 4, v[62:63]
	s_wait_alu 0xfffd
	v_add_co_ci_u32_e32 v37, vcc_lo, v81, v37, vcc_lo
	v_lshrrev_b32_e32 v52, 5, v45
	v_add_co_u32 v38, vcc_lo, v80, v38
	v_mad_co_u64_u32 v[9:10], null, s17, v48, v[9:10]
	v_mad_co_u64_u32 v[10:11], null, s17, v49, v[11:12]
	s_wait_alu 0xfffd
	v_add_co_ci_u32_e32 v39, vcc_lo, v81, v39, vcc_lo
	v_mul_lo_u32 v11, 0x77, v52
	v_mad_co_u64_u32 v[48:49], null, s16, v51, 0
	v_add_co_u32 v46, vcc_lo, v80, v46
	s_wait_alu 0xfffd
	v_add_co_ci_u32_e32 v47, vcc_lo, v81, v47, vcc_lo
	s_clause 0x1
	global_store_b128 v[36:37], v[40:43], off
	global_store_b128 v[38:39], v[204:207], off
	v_mov_b32_e32 v45, v10
	global_store_b128 v[46:47], v[0:3], off
	v_lshlrev_b64_e32 v[1:2], 4, v[8:9]
	v_sub_nc_u32_e32 v3, v50, v11
	v_mov_b32_e32 v0, v49
	v_lshlrev_b64_e32 v[8:9], 4, v[44:45]
	s_delay_alu instid0(VALU_DEP_3) | instskip(NEXT) | instid1(VALU_DEP_3)
	v_mad_co_u64_u32 v[36:37], null, 0x253, v52, v[3:4]
	v_mad_co_u64_u32 v[10:11], null, s17, v51, v[0:1]
	v_add_co_u32 v0, vcc_lo, v80, v1
	s_wait_alu 0xfffd
	v_add_co_ci_u32_e32 v1, vcc_lo, v81, v2, vcc_lo
	v_add_co_u32 v2, vcc_lo, v80, v8
	s_wait_alu 0xfffd
	v_add_co_ci_u32_e32 v3, vcc_lo, v81, v9, vcc_lo
	global_store_b128 v[0:1], v[32:35], off
	v_add_nc_u32_e32 v33, 0xee, v36
	v_dual_mov_b32 v49, v10 :: v_dual_add_nc_u32 v32, 0x77, v36
	v_mad_co_u64_u32 v[8:9], null, s16, v36, 0
	s_delay_alu instid0(VALU_DEP_3)
	v_mad_co_u64_u32 v[10:11], null, s16, v33, 0
	global_store_b128 v[2:3], v[28:31], off
	v_mad_co_u64_u32 v[2:3], null, s16, v32, 0
	v_lshlrev_b64_e32 v[0:1], 4, v[48:49]
	v_add_nc_u32_e32 v35, 0x165, v36
	v_mad_co_u64_u32 v[28:29], null, s17, v36, v[9:10]
	v_add_nc_u32_e32 v36, 0x1dc, v36
	v_mad_co_u64_u32 v[29:30], null, s17, v32, v[3:4]
	v_mov_b32_e32 v3, v11
	v_mad_co_u64_u32 v[30:31], null, s16, v35, 0
	v_add_co_u32 v0, vcc_lo, v80, v0
	s_wait_alu 0xfffd
	v_add_co_ci_u32_e32 v1, vcc_lo, v81, v1, vcc_lo
	v_mad_co_u64_u32 v[32:33], null, s17, v33, v[3:4]
	v_mad_co_u64_u32 v[33:34], null, s16, v36, 0
	global_store_b128 v[0:1], v[24:27], off
	v_dual_mov_b32 v0, v31 :: v_dual_mov_b32 v3, v29
	v_mov_b32_e32 v9, v28
	v_mov_b32_e32 v11, v32
	s_delay_alu instid0(VALU_DEP_3) | instskip(NEXT) | instid1(VALU_DEP_4)
	v_mad_co_u64_u32 v[0:1], null, s17, v35, v[0:1]
	v_lshlrev_b64_e32 v[2:3], 4, v[2:3]
	v_mov_b32_e32 v1, v34
	v_lshlrev_b64_e32 v[8:9], 4, v[8:9]
	v_lshlrev_b64_e32 v[10:11], 4, v[10:11]
	s_delay_alu instid0(VALU_DEP_3) | instskip(NEXT) | instid1(VALU_DEP_3)
	v_mad_co_u64_u32 v[24:25], null, s17, v36, v[1:2]
	v_add_co_u32 v8, vcc_lo, v80, v8
	v_mov_b32_e32 v31, v0
	s_wait_alu 0xfffd
	v_add_co_ci_u32_e32 v9, vcc_lo, v81, v9, vcc_lo
	v_add_co_u32 v0, vcc_lo, v80, v2
	v_mov_b32_e32 v34, v24
	s_wait_alu 0xfffd
	v_add_co_ci_u32_e32 v1, vcc_lo, v81, v3, vcc_lo
	v_lshlrev_b64_e32 v[2:3], 4, v[30:31]
	v_add_co_u32 v10, vcc_lo, v80, v10
	v_lshlrev_b64_e32 v[24:25], 4, v[33:34]
	s_wait_alu 0xfffd
	v_add_co_ci_u32_e32 v11, vcc_lo, v81, v11, vcc_lo
	s_delay_alu instid0(VALU_DEP_4)
	v_add_co_u32 v2, vcc_lo, v80, v2
	s_wait_alu 0xfffd
	v_add_co_ci_u32_e32 v3, vcc_lo, v81, v3, vcc_lo
	v_add_co_u32 v24, vcc_lo, v80, v24
	s_wait_alu 0xfffd
	v_add_co_ci_u32_e32 v25, vcc_lo, v81, v25, vcc_lo
	s_clause 0x4
	global_store_b128 v[8:9], v[184:187], off
	global_store_b128 v[0:1], v[20:23], off
	;; [unrolled: 1-line block ×5, first 2 shown]
.LBB0_22:
	s_endpgm
	.section	.rodata,"a",@progbits
	.p2align	6, 0x0
	.amdhsa_kernel fft_rtc_back_len595_factors_7_17_5_wgs_51_tpt_17_halfLds_dp_op_CI_CI_sbrr_dirReg
		.amdhsa_group_segment_fixed_size 0
		.amdhsa_private_segment_fixed_size 628
		.amdhsa_kernarg_size 104
		.amdhsa_user_sgpr_count 2
		.amdhsa_user_sgpr_dispatch_ptr 0
		.amdhsa_user_sgpr_queue_ptr 0
		.amdhsa_user_sgpr_kernarg_segment_ptr 1
		.amdhsa_user_sgpr_dispatch_id 0
		.amdhsa_user_sgpr_private_segment_size 0
		.amdhsa_wavefront_size32 1
		.amdhsa_uses_dynamic_stack 0
		.amdhsa_enable_private_segment 1
		.amdhsa_system_sgpr_workgroup_id_x 1
		.amdhsa_system_sgpr_workgroup_id_y 0
		.amdhsa_system_sgpr_workgroup_id_z 0
		.amdhsa_system_sgpr_workgroup_info 0
		.amdhsa_system_vgpr_workitem_id 0
		.amdhsa_next_free_vgpr 256
		.amdhsa_next_free_sgpr 60
		.amdhsa_reserve_vcc 1
		.amdhsa_float_round_mode_32 0
		.amdhsa_float_round_mode_16_64 0
		.amdhsa_float_denorm_mode_32 3
		.amdhsa_float_denorm_mode_16_64 3
		.amdhsa_fp16_overflow 0
		.amdhsa_workgroup_processor_mode 1
		.amdhsa_memory_ordered 1
		.amdhsa_forward_progress 0
		.amdhsa_round_robin_scheduling 0
		.amdhsa_exception_fp_ieee_invalid_op 0
		.amdhsa_exception_fp_denorm_src 0
		.amdhsa_exception_fp_ieee_div_zero 0
		.amdhsa_exception_fp_ieee_overflow 0
		.amdhsa_exception_fp_ieee_underflow 0
		.amdhsa_exception_fp_ieee_inexact 0
		.amdhsa_exception_int_div_zero 0
	.end_amdhsa_kernel
	.text
.Lfunc_end0:
	.size	fft_rtc_back_len595_factors_7_17_5_wgs_51_tpt_17_halfLds_dp_op_CI_CI_sbrr_dirReg, .Lfunc_end0-fft_rtc_back_len595_factors_7_17_5_wgs_51_tpt_17_halfLds_dp_op_CI_CI_sbrr_dirReg
                                        ; -- End function
	.section	.AMDGPU.csdata,"",@progbits
; Kernel info:
; codeLenInByte = 35808
; NumSgprs: 62
; NumVgprs: 256
; ScratchSize: 628
; MemoryBound: 1
; FloatMode: 240
; IeeeMode: 1
; LDSByteSize: 0 bytes/workgroup (compile time only)
; SGPRBlocks: 7
; VGPRBlocks: 31
; NumSGPRsForWavesPerEU: 62
; NumVGPRsForWavesPerEU: 256
; Occupancy: 5
; WaveLimiterHint : 1
; COMPUTE_PGM_RSRC2:SCRATCH_EN: 1
; COMPUTE_PGM_RSRC2:USER_SGPR: 2
; COMPUTE_PGM_RSRC2:TRAP_HANDLER: 0
; COMPUTE_PGM_RSRC2:TGID_X_EN: 1
; COMPUTE_PGM_RSRC2:TGID_Y_EN: 0
; COMPUTE_PGM_RSRC2:TGID_Z_EN: 0
; COMPUTE_PGM_RSRC2:TIDIG_COMP_CNT: 0
	.text
	.p2alignl 7, 3214868480
	.fill 96, 4, 3214868480
	.type	__hip_cuid_9978432630120911,@object ; @__hip_cuid_9978432630120911
	.section	.bss,"aw",@nobits
	.globl	__hip_cuid_9978432630120911
__hip_cuid_9978432630120911:
	.byte	0                               ; 0x0
	.size	__hip_cuid_9978432630120911, 1

	.ident	"AMD clang version 19.0.0git (https://github.com/RadeonOpenCompute/llvm-project roc-6.4.0 25133 c7fe45cf4b819c5991fe208aaa96edf142730f1d)"
	.section	".note.GNU-stack","",@progbits
	.addrsig
	.addrsig_sym __hip_cuid_9978432630120911
	.amdgpu_metadata
---
amdhsa.kernels:
  - .args:
      - .actual_access:  read_only
        .address_space:  global
        .offset:         0
        .size:           8
        .value_kind:     global_buffer
      - .offset:         8
        .size:           8
        .value_kind:     by_value
      - .actual_access:  read_only
        .address_space:  global
        .offset:         16
        .size:           8
        .value_kind:     global_buffer
      - .actual_access:  read_only
        .address_space:  global
        .offset:         24
        .size:           8
        .value_kind:     global_buffer
      - .actual_access:  read_only
        .address_space:  global
        .offset:         32
        .size:           8
        .value_kind:     global_buffer
      - .offset:         40
        .size:           8
        .value_kind:     by_value
      - .actual_access:  read_only
        .address_space:  global
        .offset:         48
        .size:           8
        .value_kind:     global_buffer
      - .actual_access:  read_only
        .address_space:  global
        .offset:         56
        .size:           8
        .value_kind:     global_buffer
      - .offset:         64
        .size:           4
        .value_kind:     by_value
      - .actual_access:  read_only
        .address_space:  global
        .offset:         72
        .size:           8
        .value_kind:     global_buffer
      - .actual_access:  read_only
        .address_space:  global
        .offset:         80
        .size:           8
        .value_kind:     global_buffer
      - .actual_access:  read_only
        .address_space:  global
        .offset:         88
        .size:           8
        .value_kind:     global_buffer
      - .actual_access:  write_only
        .address_space:  global
        .offset:         96
        .size:           8
        .value_kind:     global_buffer
    .group_segment_fixed_size: 0
    .kernarg_segment_align: 8
    .kernarg_segment_size: 104
    .language:       OpenCL C
    .language_version:
      - 2
      - 0
    .max_flat_workgroup_size: 51
    .name:           fft_rtc_back_len595_factors_7_17_5_wgs_51_tpt_17_halfLds_dp_op_CI_CI_sbrr_dirReg
    .private_segment_fixed_size: 628
    .sgpr_count:     62
    .sgpr_spill_count: 0
    .symbol:         fft_rtc_back_len595_factors_7_17_5_wgs_51_tpt_17_halfLds_dp_op_CI_CI_sbrr_dirReg.kd
    .uniform_work_group_size: 1
    .uses_dynamic_stack: false
    .vgpr_count:     256
    .vgpr_spill_count: 161
    .wavefront_size: 32
    .workgroup_processor_mode: 1
amdhsa.target:   amdgcn-amd-amdhsa--gfx1201
amdhsa.version:
  - 1
  - 2
...

	.end_amdgpu_metadata
